;; amdgpu-corpus repo=ROCm/aiter kind=harvested arch=n/a opt=n/a

/root/src/amdgpu-assembly/repos/ROCm__aiter/hsa/gfx950/pa/pa_bf16_noquant_gqa8_1tg_4w_mtp_msk1.co:	file format elf64-amdgpu

Disassembly of section .text:

0000000000002200 <_ZN5aiter36pa_bf16_noquant_gqa8_1tg_4w_mtp_msk1E>:
	s_and_b32 s1, s1, 0xffff                                   // 000000002200: 8601FF01 0000FFFF
	s_load_dwordx2 s[8:9], s[0:1], 0x0                         // 000000002208: C0060200 00000000
	s_load_dwordx2 s[12:13], s[0:1], 0x10                      // 000000002210: C0060300 00000010
	s_load_dwordx2 s[16:17], s[0:1], 0x20                      // 000000002218: C0060400 00000020
	s_load_dwordx2 s[20:21], s[0:1], 0x30                      // 000000002220: C0060500 00000030
	s_load_dwordx2 s[24:25], s[0:1], 0x40                      // 000000002228: C0060600 00000040
	s_load_dwordx2 s[28:29], s[0:1], 0x50                      // 000000002230: C0060700 00000050
	s_load_dword s64, s[0:1], 0x80                             // 000000002238: C0021000 00000080
	s_load_dword s65, s[0:1], 0x90                             // 000000002240: C0021040 00000090
	s_load_dword s66, s[0:1], 0xa0                             // 000000002248: C0021080 000000A0
	s_load_dword s74, s[0:1], 0xb0                             // 000000002250: C0021280 000000B0
	s_load_dword s68, s[0:1], 0xc0                             // 000000002258: C0021100 000000C0
	s_load_dword s69, s[0:1], 0xd0                             // 000000002260: C0021140 000000D0
	s_load_dword s77, s[0:1], 0xe0                             // 000000002268: C0021340 000000E0
	s_load_dwordx2 s[80:81], s[0:1], 0xf0                      // 000000002270: C0061400 000000F0
	v_lshrrev_b32_e32 v1, 10, v0                               // 000000002278: 2002008A
	v_lshrrev_b32_e32 v2, 10, v1                               // 00000000227C: 2004028A
	v_and_b32_e32 v2, 0x3ff, v2                                // 000000002280: 260404FF 000003FF
	v_and_b32_e32 v1, 0x3ff, v1                                // 000000002288: 260202FF 000003FF
	v_and_b32_e32 v0, 0x3ff, v0                                // 000000002290: 260000FF 000003FF
	v_lshrrev_b32_e32 v3, 6, v0                                // 000000002298: 20060086
	v_and_b32_e32 v0, 63, v0                                   // 00000000229C: 260000BF
	s_mov_b32 s2, s2                                           // 0000000022A0: BE820002
	s_mov_b32 s3, s3                                           // 0000000022A4: BE830003
	s_mov_b32 s4, s4                                           // 0000000022A8: BE840004
	v_readfirstlane_b32 s7, v3                                 // 0000000022AC: 7E0E0503
	s_waitcnt lgkmcnt(0)                                       // 0000000022B0: BF8CC07F
	s_mul_i32 s67, 0x100, s77                                  // 0000000022B4: 92434DFF 00000100
	s_mul_i32 s76, 0x100, s77                                  // 0000000022BC: 924C4DFF 00000100
	s_mul_i32 s75, s66, s76                                    // 0000000022C4: 924B4C42
	s_mul_i32 s60, s3, 4                                       // 0000000022C8: 923C8403
	s_and_b32 s29, s29, 0xffff                                 // 0000000022CC: 861DFF1D 0000FFFF
	s_add_u32 s28, s60, s28                                    // 0000000022D4: 801C1C3C
	s_addc_u32 s29, 0, s29                                     // 0000000022D8: 821D1D80
	s_load_dword s72, s[28:29], 0x0                            // 0000000022DC: C002120E 00000000
	s_mul_i32 s60, s3, 4                                       // 0000000022E4: 923C8403
	s_and_b32 s81, s81, 0xffff                                 // 0000000022E8: 8651FF51 0000FFFF
	s_add_u32 s80, s60, s80                                    // 0000000022F0: 8050503C
	s_addc_u32 s81, 0, s81                                     // 0000000022F4: 82515180
	s_load_dword s84, s[80:81], 0x0                            // 0000000022F8: C0021528 00000000
	s_load_dword s85, s[80:81], 0x4                            // 000000002300: C0021568 00000004
	s_mov_b32 s10, s76                                         // 000000002308: BE8A004C
	s_mov_b32 s14, s67                                         // 00000000230C: BE8E0043
	s_mul_i32 s60, 4, s65                                      // 000000002310: 923C4184
	s_mov_b32 s26, s60                                         // 000000002314: BE9A003C
	s_mov_b32 s18, 0x80000000                                  // 000000002318: BE9200FF 80000000
	s_mov_b32 s22, 0x80000000                                  // 000000002320: BE9600FF 80000000
	s_mov_b32 s11, 0x20000                                     // 000000002328: BE8B00FF 00020000
	s_mov_b32 s15, 0x20000                                     // 000000002330: BE8F00FF 00020000
	s_mov_b32 s19, 0x20000                                     // 000000002338: BE9300FF 00020000
	s_mov_b32 s23, 0x20000                                     // 000000002340: BE9700FF 00020000
	s_mov_b32 s27, 0x20000                                     // 000000002348: BE9B00FF 00020000
	s_and_b32 s9, s9, 0xffff                                   // 000000002350: 8609FF09 0000FFFF
	s_and_b32 s13, s13, 0xffff                                 // 000000002358: 860DFF0D 0000FFFF
	s_and_b32 s17, s17, 0xffff                                 // 000000002360: 8611FF11 0000FFFF
	s_and_b32 s21, s21, 0xffff                                 // 000000002368: 8615FF15 0000FFFF
	s_and_b32 s25, s25, 0xffff                                 // 000000002370: 8619FF19 0000FFFF
	s_or_b32 s9, s9, 0x40000                                   // 000000002378: 8709FF09 00040000
	s_or_b32 s13, s13, 0x40000                                 // 000000002380: 870DFF0D 00040000
	s_or_b32 s17, s17, 0x40000                                 // 000000002388: 8711FF11 00040000
	s_or_b32 s21, s21, 0x40000                                 // 000000002390: 8715FF15 00040000
	s_or_b32 s25, s25, 0x40000                                 // 000000002398: 8719FF19 00040000
	v_accvgpr_write_b32 a255, 0                                // 0000000023A0: D3D940FF 18000080
	v_mov_b32_e32 v207, 0                                      // 0000000023A8: 7F9E0280
	s_mov_b32 s88, 0                                           // 0000000023AC: BED80080
	s_waitcnt lgkmcnt(0)                                       // 0000000023B0: BF8CC07F
	s_sub_u32 s86, s85, s84                                    // 0000000023B4: 80D65455
	s_mov_b32 s60, 2                                           // 0000000023B8: BEBC0082
	s_cmp_eq_i32 s60, s86                                      // 0000000023BC: BF00563C
	s_cbranch_scc1 label_0FBD                                  // 0000000023C0: BF850F4B
	s_mov_b32 s60, 3                                           // 0000000023C4: BEBC0083
	s_cmp_eq_i32 s60, s86                                      // 0000000023C8: BF00563C
	s_cbranch_scc1 label_2168                                  // 0000000023CC: BF8520F3
	s_mov_b32 s60, 4                                           // 0000000023D0: BEBC0084
	s_cmp_eq_i32 s60, s86                                      // 0000000023D4: BF00563C
	s_cbranch_scc1 label_21CA                                  // 0000000023D8: BF852152
	s_mul_i32 s60, s3, s65                                     // 0000000023DC: 923C4103
	s_mul_i32 s60, s60, 4                                      // 0000000023E0: 923C843C
	s_add_u32 s24, s60, s24                                    // 0000000023E4: 8018183C
	s_addc_u32 s25, 0, s25                                     // 0000000023E8: 82191980
	s_mov_b32 s56, 64                                          // 0000000023EC: BEB800C0
	s_waitcnt lgkmcnt(0)                                       // 0000000023F0: BF8CC07F
	s_add_u32 s73, s72, 15                                     // 0000000023F4: 80498F48
	s_lshr_b32 s73, s73, 4                                     // 0000000023F8: 8F498449
	s_mul_i32 s60, s73, 4                                      // 0000000023FC: 923C8449
	s_mov_b32 s26, s60                                         // 000000002400: BE9A003C
	v_and_b32_e32 v40, 3, v0                                   // 000000002404: 26500083
	v_cmp_eq_u32_e64 s[60:61], 0, v40                          // 000000002408: D0CA003C 00025080
	v_and_b32_e32 v39, 12, v0                                  // 000000002410: 264E008C
	v_add_u32_e32 v1, s7, v39                                  // 000000002414: 68024E07
	v_cndmask_b32_e64 v1, 0, v1, s[60:61]                      // 000000002418: D1000001 00F20280
	v_and_b32_e32 v40, 3, v0                                   // 000000002420: 26500083
	v_cmp_eq_u32_e64 s[60:61], 0, v40                          // 000000002424: D0CA003C 00025080
	v_lshrrev_b32_e32 v39, 5, v0                               // 00000000242C: 204E0085
	v_and_b32_e32 v40, 14, v0                                  // 000000002430: 2650008E
	v_add_u32_e32 v39, v40, v39                                // 000000002434: 684E4F28
	v_cndmask_b32_e64 v39, v39, 0, s[60:61]                    // 000000002438: D1000027 00F10127
	v_add_u32_e32 v1, v1, v39                                  // 000000002440: 68024F01
	v_lshlrev_b32_e32 v1, 2, v1                                // 000000002444: 24020282
	v_writelane_b32 v1, 56, 7                                  // 000000002448: D28A0001 00010EB8
	v_writelane_b32 v1, 56, 23                                 // 000000002450: D28A0001 00012EB8
	v_writelane_b32 v1, 60, 39                                 // 000000002458: D28A0001 00014EBC
	v_writelane_b32 v1, 60, 55                                 // 000000002460: D28A0001 00016EBC
	buffer_load_dword v17, v1, s[24:27], 0 offen               // 000000002468: E0501000 80061101
	v_add_u32_e32 v1, s56, v1                                  // 000000002470: 68020238
	buffer_load_dword v18, v1, s[24:27], 0 offen               // 000000002474: E0501000 80061201
	s_cmp_le_u32 s73, 32                                       // 00000000247C: BF0BA049
	s_cselect_b32 s56, 0, s56                                  // 000000002480: 85383880
	s_mul_i32 s61, s2, s67                                     // 000000002484: 923D4302
	s_mul_i32 s60, s84, s74                                    // 000000002488: 923C4A54
	s_add_u32 s60, s60, s61                                    // 00000000248C: 803C3D3C
	s_add_u32 s12, s60, s12                                    // 000000002490: 800C0C3C
	s_addc_u32 s13, 0, s13                                     // 000000002494: 820D0D80
	s_mul_i32 s60, s7, 0x420                                   // 000000002498: 923CFF07 00000420
	s_add_u32 m0, 0, s60                                       // 0000000024A0: 807C3C80
	s_mul_i32 s60, s7, 0x100                                   // 0000000024A4: 923CFF07 00000100
	v_lshlrev_b32_e32 v39, 2, v0                               // 0000000024AC: 244E0082
	v_add_u32_e64 v39, v39, s60                                // 0000000024B0: D1340027 00007927
	buffer_load_dword v39, s[12:15], 0 offen lds               // 0000000024B8: E0511000 80030027
	s_add_u32 m0, m0, 0x100                                    // 0000000024C0: 807CFF7C 00000100
	v_add_u32_e32 v39, 0x400, v39                              // 0000000024C8: 684E4EFF 00000400
	buffer_load_dword v39, s[12:15], 0 offen lds               // 0000000024D0: E0511000 80030027
	s_add_u32 m0, m0, 0x100                                    // 0000000024D8: 807CFF7C 00000100
	v_add_u32_e32 v39, 0x400, v39                              // 0000000024E0: 684E4EFF 00000400
	s_mul_i32 s60, s7, 0x420                                   // 0000000024E8: 923CFF07 00000420
	v_lshlrev_b32_e32 v39, 2, v0                               // 0000000024F0: 244E0082
	v_add_u32_e64 v39, v39, s60                                // 0000000024F4: D1340027 00007927
	v_mov_b32_e32 v40, 0                                       // 0000000024FC: 7E500280
	ds_write_b32 v39, v40 offset:512                           // 000000002500: D81A0200 00002827
	ds_write_b32 v39, v40 offset:768                           // 000000002508: D81A0300 00002827
	s_mul_i32 s61, s2, s76                                     // 000000002510: 923D4C02
	s_mul_i32 s60, s84, s75                                    // 000000002514: 923C4B54
	s_add_u32 s60, s60, s61                                    // 000000002518: 803C3D3C
	s_add_u32 s8, s60, s8                                      // 00000000251C: 8008083C
	s_addc_u32 s9, 0, s9                                       // 000000002520: 82090980
	s_mul_i32 s60, s7, 0x100                                   // 000000002524: 923CFF07 00000100
	v_lshlrev_b32_e32 v8, 2, v0                                // 00000000252C: 24100082
	v_add_u32_e64 v8, v8, s60                                  // 000000002530: D1340008 00007908
	s_mov_b32 s70, 0                                           // 000000002538: BEC60080
	s_and_b32 s71, s72, 0xffffff00                             // 00000000253C: 8647FF48 FFFFFF00
	v_mov_b32_e32 v54, s68                                     // 000000002544: 7E6C0244
	v_mov_b32_e32 v9, -1                                       // 000000002548: 7E1202C1
	s_mov_b32 s52, 0x7060302                                   // 00000000254C: BEB400FF 07060302
	s_mov_b32 s53, 0x400                                       // 000000002554: BEB500FF 00000400
	s_mov_b32 s54, 0x40100                                     // 00000000255C: BEB600FF 00040100
	s_mov_b32 s55, 0x4020100                                   // 000000002564: BEB700FF 04020100
	v_mov_b32_dpp v9, v9 row_shl:8 row_mask:0xf bank_mask:0xf bound_ctrl:1// 00000000256C: 7E1202FA FF090809
	s_mov_b32 s6, 0x3fb8aa3b                                   // 000000002574: BE8600FF 3FB8AA3B
	v_mov_b32_e32 v14, 0xff800000                              // 00000000257C: 7E1C02FF FF800000
	v_mov_b32_e32 v55, 0xff800000                              // 000000002584: 7E6E02FF FF800000
	v_mov_b32_e32 v51, 0                                       // 00000000258C: 7E660280
	v_mov_b32_e32 v43, 0                                       // 000000002590: 7E560280
	v_mov_b32_e32 v20, 0xffff0000                              // 000000002594: 7E2802FF FFFF0000
	v_mov_b32_e32 v21, 0x7fff0000                              // 00000000259C: 7E2A02FF 7FFF0000
	v_mov_b32_e32 v22, 0x7fff                                  // 0000000025A4: 7E2C02FF 00007FFF
	v_add_u32_e32 v1, s56, v1                                  // 0000000025AC: 68020238
	v_and_b32_e32 v10, 15, v0                                  // 0000000025B0: 2614008F
	v_lshlrev_b32_e32 v10, 2, v10                              // 0000000025B4: 24141482
	v_lshlrev_b32_e32 v11, 2, v0                               // 0000000025B8: 24160082
	s_mul_i32 s60, 0x100, s7                                   // 0000000025BC: 923C07FF 00000100
	v_add_u32_e32 v11, s60, v11                                // 0000000025C4: 6816163C
	v_lshrrev_b32_e32 v39, 4, v0                               // 0000000025C8: 204E0084
	v_lshlrev_b32_e32 v40, 6, v39                              // 0000000025CC: 24504E86
	v_and_b32_e32 v39, 15, v0                                  // 0000000025D0: 264E008F
	v_lshlrev_b32_e32 v39, 1, v39                              // 0000000025D4: 244E4E81
	v_add_u32_e32 v40, v39, v40                                // 0000000025D8: 68505127
	v_lshlrev_b32_e32 v12, 2, v40                              // 0000000025DC: 24185082
	v_lshlrev_b32_e32 v39, 3, v0                               // 0000000025E0: 244E0083
	s_mul_i32 s60, 0x200, s7                                   // 0000000025E4: 923C07FF 00000200
	v_add_u32_e64 v13, v39, s60                                // 0000000025EC: D134000D 00007927
	v_lshlrev_b32_e32 v6, 4, v0                                // 0000000025F4: 240C0084
	s_mul_i32 s60, s2, s69                                     // 0000000025F8: 923C4502
	s_add_u32 s16, s60, s16                                    // 0000000025FC: 8010103C
	s_addc_u32 s17, 0, s17                                     // 000000002600: 82111180
	v_and_b32_e32 v39, 15, v0                                  // 000000002604: 264E008F
	v_lshlrev_b32_e32 v7, 4, v39                               // 000000002608: 240E4E84
	v_and_b32_e32 v39, 31, v0                                  // 00000000260C: 264E009F
	v_lshrrev_b32_e32 v39, 4, v39                              // 000000002610: 204E4E84
	v_mul_i32_i24_e32 v39, 0x800, v39                          // 000000002614: 0C4E4EFF 00000800
	v_add_u32_e32 v7, v39, v7                                  // 00000000261C: 680E0F27
	s_mul_i32 s61, s2, s69                                     // 000000002620: 923D4502
	s_mul_i32 s60, s7, 0x100                                   // 000000002624: 923CFF07 00000100
	s_add_u32 s60, s60, s61                                    // 00000000262C: 803C3D3C
	s_add_u32 s20, s60, s20                                    // 000000002630: 8014143C
	s_addc_u32 s21, 0, s21                                     // 000000002634: 82151580
	s_waitcnt vmcnt(2)                                         // 000000002638: BF8C0F72
	v_mul_u32_u24_dpp v39, v17, v54 row_newbcast:0 row_mask:0xf bank_mask:0xf// 00000000263C: 104E6CFA FF015011
	v_mul_u32_u24_dpp v40, v17, v54 row_newbcast:4 row_mask:0xf bank_mask:0xf// 000000002644: 10506CFA FF015411
	v_mul_u32_u24_dpp v41, v17, v54 row_newbcast:8 row_mask:0xf bank_mask:0xf// 00000000264C: 10526CFA FF015811
	v_mul_u32_u24_dpp v42, v17, v54 row_newbcast:12 row_mask:0xf bank_mask:0xf// 000000002654: 10546CFA FF015C11
	v_add_u32_e32 v23, v39, v6                                 // 00000000265C: 682E0D27
	v_add_u32_e32 v24, v40, v6                                 // 000000002660: 68300D28
	v_add_u32_e32 v25, v41, v6                                 // 000000002664: 68320D29
	v_add_u32_e32 v26, v42, v6                                 // 000000002668: 68340D2A
	v_mul_u32_u24_dpp v39, v17, v54 row_newbcast:1 row_mask:0xf bank_mask:0xf// 00000000266C: 104E6CFA FF015111
	v_mul_u32_u24_dpp v40, v17, v54 row_newbcast:2 row_mask:0xf bank_mask:0xf// 000000002674: 10506CFA FF015211
	v_mul_u32_u24_dpp v41, v17, v54 row_newbcast:5 row_mask:0xf bank_mask:0xf// 00000000267C: 10526CFA FF015511
	v_mul_u32_u24_dpp v42, v17, v54 row_newbcast:6 row_mask:0xf bank_mask:0xf// 000000002684: 10546CFA FF015611
	v_add_u32_e32 v192, v39, v7                                // 00000000268C: 69800F27
	v_add_u32_e32 v193, v40, v7                                // 000000002690: 69820F28
	v_add_u32_e32 v194, v41, v7                                // 000000002694: 69840F29
	v_add_u32_e32 v195, v42, v7                                // 000000002698: 69860F2A
	v_mul_u32_u24_dpp v39, v17, v54 row_newbcast:9 row_mask:0xf bank_mask:0xf// 00000000269C: 104E6CFA FF015911
	v_mul_u32_u24_dpp v40, v17, v54 row_newbcast:10 row_mask:0xf bank_mask:0xf// 0000000026A4: 10506CFA FF015A11
	v_mul_u32_u24_dpp v41, v17, v54 row_newbcast:13 row_mask:0xf bank_mask:0xf// 0000000026AC: 10526CFA FF015D11
	v_mul_u32_u24_dpp v42, v17, v54 row_newbcast:7 row_mask:0xf bank_mask:0xf// 0000000026B4: 10546CFA FF015711
	v_add_u32_e32 v196, v39, v7                                // 0000000026BC: 69880F27
	v_add_u32_e32 v197, v40, v7                                // 0000000026C0: 698A0F28
	v_add_u32_e32 v198, v41, v7                                // 0000000026C4: 698C0F29
	v_add_u32_e32 v199, v42, v7                                // 0000000026C8: 698E0F2A
	buffer_load_dwordx4 a[0:3], v23, s[16:19], 0 offen         // 0000000026CC: E05C1000 80840017
	buffer_load_dwordx4 a[4:7], v23, s[16:19], 0 offen offset:1024// 0000000026D4: E05C1400 80840417
	buffer_load_dwordx4 a[8:11], v23, s[16:19], 0 offen offset:2048// 0000000026DC: E05C1800 80840817
	buffer_load_dwordx4 a[12:15], v23, s[16:19], 0 offen offset:3072// 0000000026E4: E05C1C00 80840C17
	buffer_load_dwordx4 a[16:19], v24, s[16:19], 0 offen       // 0000000026EC: E05C1000 80841018
	buffer_load_dwordx4 a[20:23], v24, s[16:19], 0 offen offset:1024// 0000000026F4: E05C1400 80841418
	buffer_load_dwordx4 a[24:27], v24, s[16:19], 0 offen offset:2048// 0000000026FC: E05C1800 80841818
	buffer_load_dwordx4 a[28:31], v24, s[16:19], 0 offen offset:3072// 000000002704: E05C1C00 80841C18
	buffer_load_dwordx4 a[32:35], v25, s[16:19], 0 offen       // 00000000270C: E05C1000 80842019
	buffer_load_dwordx4 a[36:39], v25, s[16:19], 0 offen offset:1024// 000000002714: E05C1400 80842419
	buffer_load_dwordx4 a[40:43], v25, s[16:19], 0 offen offset:2048// 00000000271C: E05C1800 80842819
	buffer_load_dwordx4 a[44:47], v25, s[16:19], 0 offen offset:3072// 000000002724: E05C1C00 80842C19
	buffer_load_dwordx4 a[48:51], v26, s[16:19], 0 offen       // 00000000272C: E05C1000 8084301A
	buffer_load_dwordx4 a[52:55], v26, s[16:19], 0 offen offset:1024// 000000002734: E05C1400 8084341A
	buffer_load_dwordx4 a[56:59], v26, s[16:19], 0 offen offset:2048// 00000000273C: E05C1800 8084381A
	buffer_load_dwordx4 a[60:63], v26, s[16:19], 0 offen offset:3072// 000000002744: E05C1C00 80843C1A
	buffer_load_dwordx4 a[128:131], v192, s[20:23], 0 offen    // 00000000274C: E05C1000 808580C0
	buffer_load_dwordx4 a[132:135], v193, s[20:23], 0 offen    // 000000002754: E05C1000 808584C1
	buffer_load_dwordx4 a[136:139], v194, s[20:23], 0 offen    // 00000000275C: E05C1000 808588C2
	buffer_load_dwordx4 a[140:143], v195, s[20:23], 0 offen    // 000000002764: E05C1000 80858CC3
	buffer_load_dwordx4 a[144:147], v196, s[20:23], 0 offen    // 00000000276C: E05C1000 808590C4
	buffer_load_dwordx4 a[148:151], v197, s[20:23], 0 offen    // 000000002774: E05C1000 808594C5
	buffer_load_dwordx4 a[152:155], v198, s[20:23], 0 offen    // 00000000277C: E05C1000 808598C6
	buffer_load_dwordx4 a[156:159], v199, s[20:23], 0 offen    // 000000002784: E05C1000 80859CC7
	buffer_load_dwordx4 a[160:163], v192, s[20:23], 0 offen offset:1024// 00000000278C: E05C1400 8085A0C0
	buffer_load_dwordx4 a[164:167], v193, s[20:23], 0 offen offset:1024// 000000002794: E05C1400 8085A4C1
	buffer_load_dwordx4 a[168:171], v194, s[20:23], 0 offen offset:1024// 00000000279C: E05C1400 8085A8C2
	buffer_load_dwordx4 a[172:175], v195, s[20:23], 0 offen offset:1024// 0000000027A4: E05C1400 8085ACC3
	buffer_load_dwordx4 a[176:179], v196, s[20:23], 0 offen offset:1024// 0000000027AC: E05C1400 8085B0C4
	buffer_load_dwordx4 a[180:183], v197, s[20:23], 0 offen offset:1024// 0000000027B4: E05C1400 8085B4C5
	buffer_load_dwordx4 a[184:187], v198, s[20:23], 0 offen offset:1024// 0000000027BC: E05C1400 8085B8C6
	buffer_load_dwordx4 a[188:191], v199, s[20:23], 0 offen offset:1024// 0000000027C4: E05C1400 8085BCC7
	v_lshrrev_b32_e32 v39, 4, v0                               // 0000000027CC: 204E0084
	v_lshlrev_b32_e32 v40, 2, v39                              // 0000000027D0: 24504E82
	v_and_b32_e32 v39, 15, v0                                  // 0000000027D4: 264E008F
	v_lshrrev_b32_e32 v41, 2, v39                              // 0000000027D8: 20524E82
	v_lshlrev_b32_e32 v41, 6, v41                              // 0000000027DC: 24525286
	v_add_u32_e32 v40, v41, v40                                // 0000000027E0: 68505129
	v_and_b32_e32 v39, 3, v0                                   // 0000000027E4: 264E0083
	v_mul_i32_i24_e32 v41, 0x108, v39                          // 0000000027E8: 0C524EFF 00000108
	v_add_u32_e32 v40, v41, v40                                // 0000000027F0: 68505129
	v_lshlrev_b32_e32 v4, 2, v40                               // 0000000027F4: 24085082
	s_waitcnt vmcnt(32) lgkmcnt(0)                             // 0000000027F8: BF8C8070
	s_barrier                                                  // 0000000027FC: BF8A0000
	ds_read_b128 v[80:83], v4                                  // 000000002800: D9FE0000 50000004
	ds_read_b128 v[84:87], v4 offset:64                        // 000000002808: D9FE0040 54000004
	ds_read_b128 v[88:91], v4 offset:128                       // 000000002810: D9FE0080 58000004
	ds_read_b128 v[92:95], v4 offset:192                       // 000000002818: D9FE00C0 5C000004
	v_mov_b32_e32 v176, 0                                      // 000000002820: 7F600280
	v_mov_b32_e32 v177, 0                                      // 000000002824: 7F620280
	v_mov_b32_e32 v178, 0                                      // 000000002828: 7F640280
	v_mov_b32_e32 v179, 0                                      // 00000000282C: 7F660280
	v_mov_b32_e32 v180, 0                                      // 000000002830: 7F680280
	v_mov_b32_e32 v181, 0                                      // 000000002834: 7F6A0280
	v_mov_b32_e32 v182, 0                                      // 000000002838: 7F6C0280
	v_mov_b32_e32 v183, 0                                      // 00000000283C: 7F6E0280
	s_waitcnt vmcnt(16) lgkmcnt(0)                             // 000000002840: BF8C4070
	s_barrier                                                  // 000000002844: BF8A0000
	v_mul_u32_u24_dpp v39, v18, v54 row_newbcast:0 row_mask:0xf bank_mask:0xf// 000000002848: 104E6CFA FF015012
	v_mul_u32_u24_dpp v40, v18, v54 row_newbcast:4 row_mask:0xf bank_mask:0xf// 000000002850: 10506CFA FF015412
	v_mul_u32_u24_dpp v41, v18, v54 row_newbcast:8 row_mask:0xf bank_mask:0xf// 000000002858: 10526CFA FF015812
	v_mul_u32_u24_dpp v42, v18, v54 row_newbcast:12 row_mask:0xf bank_mask:0xf// 000000002860: 10546CFA FF015C12
	v_add_u32_e32 v27, v39, v6                                 // 000000002868: 68360D27
	v_add_u32_e32 v28, v40, v6                                 // 00000000286C: 68380D28
	v_add_u32_e32 v29, v41, v6                                 // 000000002870: 683A0D29
	v_add_u32_e32 v30, v42, v6                                 // 000000002874: 683C0D2A
	v_mul_u32_u24_dpp v39, v18, v54 row_newbcast:1 row_mask:0xf bank_mask:0xf// 000000002878: 104E6CFA FF015112
	v_mul_u32_u24_dpp v40, v18, v54 row_newbcast:2 row_mask:0xf bank_mask:0xf// 000000002880: 10506CFA FF015212
	v_mul_u32_u24_dpp v41, v18, v54 row_newbcast:5 row_mask:0xf bank_mask:0xf// 000000002888: 10526CFA FF015512
	v_mul_u32_u24_dpp v42, v18, v54 row_newbcast:6 row_mask:0xf bank_mask:0xf// 000000002890: 10546CFA FF015612
	v_add_u32_e32 v200, v39, v7                                // 000000002898: 69900F27
	v_add_u32_e32 v201, v40, v7                                // 00000000289C: 69920F28
	v_add_u32_e32 v202, v41, v7                                // 0000000028A0: 69940F29
	v_add_u32_e32 v203, v42, v7                                // 0000000028A4: 69960F2A
	v_mul_u32_u24_dpp v39, v18, v54 row_newbcast:9 row_mask:0xf bank_mask:0xf// 0000000028A8: 104E6CFA FF015912
	v_mul_u32_u24_dpp v40, v18, v54 row_newbcast:10 row_mask:0xf bank_mask:0xf// 0000000028B0: 10506CFA FF015A12
	v_mul_u32_u24_dpp v41, v18, v54 row_newbcast:13 row_mask:0xf bank_mask:0xf// 0000000028B8: 10526CFA FF015D12
	v_mul_u32_u24_dpp v42, v18, v54 row_newbcast:7 row_mask:0xf bank_mask:0xf// 0000000028C0: 10546CFA FF015712
	v_add_u32_e32 v204, v39, v7                                // 0000000028C8: 69980F27
	v_add_u32_e32 v205, v40, v7                                // 0000000028CC: 699A0F28
	v_add_u32_e32 v206, v41, v7                                // 0000000028D0: 699C0F29
	v_add_u32_e32 v207, v42, v7                                // 0000000028D4: 699E0F2A
	s_cmp_lt_u32 s73, 16                                       // 0000000028D8: BF0A9049
	s_cbranch_scc1 label_0B2D                                  // 0000000028DC: BF850974
	s_cmp_lt_i32 s7, 2                                         // 0000000028E0: BF048207
	s_cbranch_scc0 label_05AA                                  // 0000000028E4: BF8403F0

00000000000028e8 <label_01BA>:
	s_waitcnt vmcnt(16) lgkmcnt(0)                             // 0000000028E8: BF8C4070
	v_mfma_f32_16x16x16_bf16 v[112:115], a[0:1], v[80:81], 0   // 0000000028EC: D3E10070 0A02A100
	v_mfma_f32_16x16x16_bf16 v[112:115], a[2:3], v[82:83], v[112:115]// 0000000028F4: D3E10070 0DC2A502
	buffer_load_dwordx4 a[64:67], v27, s[16:19], 0 offen       // 0000000028FC: E05C1000 8084401B
	v_mfma_f32_16x16x16_bf16 v[112:115], a[4:5], v[84:85], v[112:115]// 000000002904: D3E10070 0DC2A904
	v_mfma_f32_16x16x16_bf16 v[112:115], a[6:7], v[86:87], v[112:115]// 00000000290C: D3E10070 0DC2AD06
	buffer_load_dword v17, v1, s[24:27], 0 offen               // 000000002914: E0501000 80061101
	v_mfma_f32_16x16x16_bf16 v[112:115], a[8:9], v[88:89], v[112:115]// 00000000291C: D3E10070 0DC2B108
	v_mfma_f32_16x16x16_bf16 v[112:115], a[10:11], v[90:91], v[112:115]// 000000002924: D3E10070 0DC2B50A
	buffer_load_dwordx4 a[68:71], v27, s[16:19], 0 offen offset:1024// 00000000292C: E05C1400 8084441B
	v_mfma_f32_16x16x16_bf16 v[112:115], a[12:13], v[92:93], v[112:115]// 000000002934: D3E10070 0DC2B90C
	v_mfma_f32_16x16x16_bf16 v[112:115], a[14:15], v[94:95], v[112:115]// 00000000293C: D3E10070 0DC2BD0E
	v_mfma_f32_16x16x16_bf16 v[116:119], a[16:17], v[80:81], 0 // 000000002944: D3E10074 0A02A110
	v_mfma_f32_16x16x16_bf16 v[116:119], a[18:19], v[82:83], v[116:119]// 00000000294C: D3E10074 0DD2A512
	buffer_load_dwordx4 a[72:75], v27, s[16:19], 0 offen offset:2048// 000000002954: E05C1800 8084481B
	v_mfma_f32_16x16x16_bf16 v[116:119], a[20:21], v[84:85], v[116:119]// 00000000295C: D3E10074 0DD2A914
	v_mfma_f32_16x16x16_bf16 v[116:119], a[22:23], v[86:87], v[116:119]// 000000002964: D3E10074 0DD2AD16
	v_mfma_f32_16x16x16_bf16 v[116:119], a[24:25], v[88:89], v[116:119]// 00000000296C: D3E10074 0DD2B118
	v_mfma_f32_16x16x16_bf16 v[116:119], a[26:27], v[90:91], v[116:119]// 000000002974: D3E10074 0DD2B51A
	buffer_load_dwordx4 a[76:79], v27, s[16:19], 0 offen offset:3072// 00000000297C: E05C1C00 80844C1B
	v_mfma_f32_16x16x16_bf16 v[116:119], a[28:29], v[92:93], v[116:119]// 000000002984: D3E10074 0DD2B91C
	v_mfma_f32_16x16x16_bf16 v[116:119], a[30:31], v[94:95], v[116:119]// 00000000298C: D3E10074 0DD2BD1E
	v_mfma_f32_16x16x16_bf16 v[120:123], a[32:33], v[80:81], 0 // 000000002994: D3E10078 0A02A120
	v_mfma_f32_16x16x16_bf16 v[120:123], a[34:35], v[82:83], v[120:123]// 00000000299C: D3E10078 0DE2A522
	buffer_load_dwordx4 a[80:83], v28, s[16:19], 0 offen       // 0000000029A4: E05C1000 8084501C
	v_mfma_f32_16x16x16_bf16 v[120:123], a[36:37], v[84:85], v[120:123]// 0000000029AC: D3E10078 0DE2A924
	v_mfma_f32_16x16x16_bf16 v[120:123], a[38:39], v[86:87], v[120:123]// 0000000029B4: D3E10078 0DE2AD26
	v_mfma_f32_16x16x16_bf16 v[120:123], a[40:41], v[88:89], v[120:123]// 0000000029BC: D3E10078 0DE2B128
	v_mfma_f32_16x16x16_bf16 v[120:123], a[42:43], v[90:91], v[120:123]// 0000000029C4: D3E10078 0DE2B52A
	buffer_load_dwordx4 a[84:87], v28, s[16:19], 0 offen offset:1024// 0000000029CC: E05C1400 8084541C
	v_mfma_f32_16x16x16_bf16 v[120:123], a[44:45], v[92:93], v[120:123]// 0000000029D4: D3E10078 0DE2B92C
	v_mfma_f32_16x16x16_bf16 v[120:123], a[46:47], v[94:95], v[120:123]// 0000000029DC: D3E10078 0DE2BD2E
	v_mfma_f32_16x16x16_bf16 v[124:127], a[48:49], v[80:81], 0 // 0000000029E4: D3E1007C 0A02A130
	v_mfma_f32_16x16x16_bf16 v[124:127], a[50:51], v[82:83], v[124:127]// 0000000029EC: D3E1007C 0DF2A532
	buffer_load_dwordx4 a[88:91], v28, s[16:19], 0 offen offset:2048// 0000000029F4: E05C1800 8084581C
	v_mfma_f32_16x16x16_bf16 v[124:127], a[52:53], v[84:85], v[124:127]// 0000000029FC: D3E1007C 0DF2A934
	v_mfma_f32_16x16x16_bf16 v[124:127], a[54:55], v[86:87], v[124:127]// 000000002A04: D3E1007C 0DF2AD36
	v_mfma_f32_16x16x16_bf16 v[124:127], a[56:57], v[88:89], v[124:127]// 000000002A0C: D3E1007C 0DF2B138
	v_mfma_f32_16x16x16_bf16 v[124:127], a[58:59], v[90:91], v[124:127]// 000000002A14: D3E1007C 0DF2B53A
	buffer_load_dwordx4 a[92:95], v28, s[16:19], 0 offen offset:3072// 000000002A1C: E05C1C00 80845C1C
	v_mfma_f32_16x16x16_bf16 v[124:127], a[60:61], v[92:93], v[124:127]// 000000002A24: D3E1007C 0DF2B93C
	v_mfma_f32_16x16x16_bf16 v[124:127], a[62:63], v[94:95], v[124:127]// 000000002A2C: D3E1007C 0DF2BD3E
	buffer_load_dwordx4 a[96:99], v29, s[16:19], 0 offen       // 000000002A34: E05C1000 8084601D
	s_nop 8                                                    // 000000002A3C: BF800008
	v_or_b32_dpp v112, v120, v112 row_shr:8 row_mask:0xf bank_mask:0xf bound_ctrl:1// 000000002A40: 28E0E0FA FF091878
	v_or_b32_dpp v113, v121, v113 row_shr:8 row_mask:0xf bank_mask:0xf bound_ctrl:1// 000000002A48: 28E2E2FA FF091879
	v_or_b32_dpp v114, v122, v114 row_shr:8 row_mask:0xf bank_mask:0xf bound_ctrl:1// 000000002A50: 28E4E4FA FF09187A
	v_or_b32_dpp v115, v123, v115 row_shr:8 row_mask:0xf bank_mask:0xf bound_ctrl:1// 000000002A58: 28E6E6FA FF09187B
	v_or_b32_dpp v116, v124, v116 row_shr:8 row_mask:0xf bank_mask:0xf bound_ctrl:1// 000000002A60: 28E8E8FA FF09187C
	v_or_b32_dpp v117, v125, v117 row_shr:8 row_mask:0xf bank_mask:0xf bound_ctrl:1// 000000002A68: 28EAEAFA FF09187D
	v_or_b32_dpp v118, v126, v118 row_shr:8 row_mask:0xf bank_mask:0xf bound_ctrl:1// 000000002A70: 28ECECFA FF09187E
	v_or_b32_dpp v119, v127, v119 row_shr:8 row_mask:0xf bank_mask:0xf bound_ctrl:1// 000000002A78: 28EEEEFA FF09187F
	buffer_load_dwordx4 a[100:103], v29, s[16:19], 0 offen offset:1024// 000000002A80: E05C1400 8084641D
	v_mov_b32_e32 v50, v112                                    // 000000002A88: 7E640370
	v_max3_f32 v50, v112, v113, v50                            // 000000002A8C: D1D30032 04CAE370
	v_max3_f32 v50, v114, v115, v50                            // 000000002A94: D1D30032 04CAE772
	v_max3_f32 v50, v116, v117, v50                            // 000000002A9C: D1D30032 04CAEB74
	v_max3_f32 v50, v118, v119, v50                            // 000000002AA4: D1D30032 04CAEF76
	ds_write_b32 v11, v50                                      // 000000002AAC: D81A0000 0000320B
	buffer_load_dwordx4 a[104:107], v29, s[16:19], 0 offen offset:2048// 000000002AB4: E05C1800 8084681D
	s_waitcnt lgkmcnt(0)                                       // 000000002ABC: BF8CC07F
	s_barrier                                                  // 000000002AC0: BF8A0000
	ds_read_b32 v64, v10                                       // 000000002AC4: D86C0000 4000000A
	buffer_load_dwordx4 a[108:111], v29, s[16:19], 0 offen offset:3072// 000000002ACC: E05C1C00 80846C1D
	ds_read_b32 v65, v10 offset:64                             // 000000002AD4: D86C0040 4100000A
	ds_read_b32 v66, v10 offset:128                            // 000000002ADC: D86C0080 4200000A
	ds_read_b32 v67, v10 offset:192                            // 000000002AE4: D86C00C0 4300000A
	ds_read_b32 v68, v10 offset:256                            // 000000002AEC: D86C0100 4400000A
	ds_read_b32 v69, v10 offset:320                            // 000000002AF4: D86C0140 4500000A
	ds_read_b32 v70, v10 offset:384                            // 000000002AFC: D86C0180 4600000A
	ds_read_b32 v71, v10 offset:448                            // 000000002B04: D86C01C0 4700000A
	ds_read_b32 v72, v10 offset:512                            // 000000002B0C: D86C0200 4800000A
	buffer_load_dwordx4 a[112:115], v30, s[16:19], 0 offen     // 000000002B14: E05C1000 8084701E
	ds_read_b32 v73, v10 offset:576                            // 000000002B1C: D86C0240 4900000A
	ds_read_b32 v74, v10 offset:640                            // 000000002B24: D86C0280 4A00000A
	ds_read_b32 v75, v10 offset:704                            // 000000002B2C: D86C02C0 4B00000A
	ds_read_b32 v76, v10 offset:768                            // 000000002B34: D86C0300 4C00000A
	ds_read_b32 v77, v10 offset:832                            // 000000002B3C: D86C0340 4D00000A
	ds_read_b32 v78, v10 offset:896                            // 000000002B44: D86C0380 4E00000A
	ds_read_b32 v79, v10 offset:960                            // 000000002B4C: D86C03C0 4F00000A
	buffer_load_dwordx4 a[116:119], v30, s[16:19], 0 offen offset:1024// 000000002B54: E05C1400 8084741E
	buffer_load_dwordx4 a[120:123], v30, s[16:19], 0 offen offset:2048// 000000002B5C: E05C1800 8084781E
	s_waitcnt lgkmcnt(0)                                       // 000000002B64: BF8CC07F
	v_max3_f32 v50, v64, v65, v50                              // 000000002B68: D1D30032 04CA8340
	v_max3_f32 v50, v66, v67, v50                              // 000000002B70: D1D30032 04CA8742
	v_max3_f32 v50, v68, v69, v50                              // 000000002B78: D1D30032 04CA8B44
	v_max3_f32 v50, v70, v71, v50                              // 000000002B80: D1D30032 04CA8F46
	v_max3_f32 v50, v72, v73, v50                              // 000000002B88: D1D30032 04CA9348
	v_max3_f32 v50, v74, v75, v50                              // 000000002B90: D1D30032 04CA974A
	v_max3_f32 v50, v76, v77, v50                              // 000000002B98: D1D30032 04CA9B4C
	v_max3_f32 v50, v78, v79, v50                              // 000000002BA0: D1D30032 04CA9F4E
	buffer_load_dwordx4 a[124:127], v30, s[16:19], 0 offen offset:3072// 000000002BA8: E05C1C00 80847C1E
	v_cmp_eq_u32_e64 s[40:41], v55, v14                        // 000000002BB0: D0CA0028 00021D37
	s_nop 1                                                    // 000000002BB8: BF800001
	v_mov_b32_dpp v39, v50 row_ror:8 row_mask:0xf bank_mask:0xf// 000000002BBC: 7E4E02FA FF012832
	v_max_f32_e32 v50, v50, v39                                // 000000002BC4: 16644F32
	v_max_f32_e32 v16, v50, v14                                // 000000002BC8: 16201D32
	v_sub_f32_e32 v51, v14, v16                                // 000000002BCC: 0466210E
	v_cndmask_b32_e64 v51, v51, 0, s[40:41]                    // 000000002BD0: D1000033 00A10133
	v_mov_b32_e32 v14, v16                                     // 000000002BD8: 7E1C0310
	v_mul_f32_e32 v53, s64, v16                                // 000000002BDC: 0A6A2040
	v_mul_f32_e32 v51, s64, v51                                // 000000002BE0: 0A666640
	v_exp_f32_e32 v51, v51                                     // 000000002BE4: 7E664133
	buffer_load_dwordx4 a[192:195], v200, s[20:23], 0 offen    // 000000002BE8: E05C1000 8085C0C8
	v_fma_f32 v112, v112, s64, -v53                            // 000000002BF0: D1CB0070 84D48170
	v_fma_f32 v113, v113, s64, -v53                            // 000000002BF8: D1CB0071 84D48171
	v_fma_f32 v114, v114, s64, -v53                            // 000000002C00: D1CB0072 84D48172
	v_fma_f32 v115, v115, s64, -v53                            // 000000002C08: D1CB0073 84D48173
	v_fma_f32 v116, v116, s64, -v53                            // 000000002C10: D1CB0074 84D48174
	v_fma_f32 v117, v117, s64, -v53                            // 000000002C18: D1CB0075 84D48175
	v_fma_f32 v118, v118, s64, -v53                            // 000000002C20: D1CB0076 84D48176
	v_fma_f32 v119, v119, s64, -v53                            // 000000002C28: D1CB0077 84D48177
	v_exp_f32_e32 v112, v112                                   // 000000002C30: 7EE04170
	v_exp_f32_e32 v113, v113                                   // 000000002C34: 7EE24171
	v_exp_f32_e32 v114, v114                                   // 000000002C38: 7EE44172
	v_exp_f32_e32 v115, v115                                   // 000000002C3C: 7EE64173
	v_exp_f32_e32 v116, v116                                   // 000000002C40: 7EE84174
	v_exp_f32_e32 v117, v117                                   // 000000002C44: 7EEA4175
	v_exp_f32_e32 v118, v118                                   // 000000002C48: 7EEC4176
	v_exp_f32_e32 v119, v119                                   // 000000002C4C: 7EEE4177
	buffer_load_dwordx4 a[196:199], v201, s[20:23], 0 offen    // 000000002C50: E05C1000 8085C4C9
	v_mul_f32_e32 v43, v51, v43                                // 000000002C58: 0A565733
	v_mov_b32_e32 v45, v112                                    // 000000002C5C: 7E5A0370
	v_add_f32_e32 v45, v113, v45                               // 000000002C60: 025A5B71
	v_add_f32_e32 v45, v114, v45                               // 000000002C64: 025A5B72
	v_add_f32_e32 v45, v115, v45                               // 000000002C68: 025A5B73
	v_add_f32_e32 v45, v116, v45                               // 000000002C6C: 025A5B74
	v_add_f32_e32 v45, v117, v45                               // 000000002C70: 025A5B75
	v_add_f32_e32 v45, v118, v45                               // 000000002C74: 025A5B76
	v_add_f32_e32 v45, v119, v45                               // 000000002C78: 025A5B77
	v_add_f32_e32 v43, v45, v43                                // 000000002C7C: 0256572D
	buffer_load_dwordx4 a[200:203], v202, s[20:23], 0 offen    // 000000002C80: E05C1000 8085C8CA
	v_cmp_u_f32_e64 s[40:41], v112, v112                       // 000000002C88: D0480028 0002E170
	v_add3_u32 v19, v112, v22, 1                               // 000000002C90: D1FF0013 02062D70
	v_cndmask_b32_e64 v39, v19, v21, s[40:41]                  // 000000002C98: D1000027 00A22B13
	v_cmp_u_f32_e64 s[40:41], v113, v113                       // 000000002CA0: D0480028 0002E371
	v_add3_u32 v19, v113, v22, 1                               // 000000002CA8: D1FF0013 02062D71
	v_cndmask_b32_e64 v40, v19, v21, s[40:41]                  // 000000002CB0: D1000028 00A22B13
	v_perm_b32 v112, v40, v39, s52                             // 000000002CB8: D1ED0070 00D24F28
	v_cmp_u_f32_e64 s[40:41], v114, v114                       // 000000002CC0: D0480028 0002E572
	v_add3_u32 v19, v114, v22, 1                               // 000000002CC8: D1FF0013 02062D72
	v_cndmask_b32_e64 v39, v19, v21, s[40:41]                  // 000000002CD0: D1000027 00A22B13
	v_cmp_u_f32_e64 s[40:41], v115, v115                       // 000000002CD8: D0480028 0002E773
	v_add3_u32 v19, v115, v22, 1                               // 000000002CE0: D1FF0013 02062D73
	v_cndmask_b32_e64 v40, v19, v21, s[40:41]                  // 000000002CE8: D1000028 00A22B13
	v_perm_b32 v113, v40, v39, s52                             // 000000002CF0: D1ED0071 00D24F28
	v_cmp_u_f32_e64 s[40:41], v116, v116                       // 000000002CF8: D0480028 0002E974
	v_add3_u32 v19, v116, v22, 1                               // 000000002D00: D1FF0013 02062D74
	v_cndmask_b32_e64 v39, v19, v21, s[40:41]                  // 000000002D08: D1000027 00A22B13
	v_cmp_u_f32_e64 s[40:41], v117, v117                       // 000000002D10: D0480028 0002EB75
	v_add3_u32 v19, v117, v22, 1                               // 000000002D18: D1FF0013 02062D75
	v_cndmask_b32_e64 v40, v19, v21, s[40:41]                  // 000000002D20: D1000028 00A22B13
	v_perm_b32 v114, v40, v39, s52                             // 000000002D28: D1ED0072 00D24F28
	v_cmp_u_f32_e64 s[40:41], v118, v118                       // 000000002D30: D0480028 0002ED76
	v_add3_u32 v19, v118, v22, 1                               // 000000002D38: D1FF0013 02062D76
	v_cndmask_b32_e64 v39, v19, v21, s[40:41]                  // 000000002D40: D1000027 00A22B13
	v_cmp_u_f32_e64 s[40:41], v119, v119                       // 000000002D48: D0480028 0002EF77
	v_add3_u32 v19, v119, v22, 1                               // 000000002D50: D1FF0013 02062D77
	v_cndmask_b32_e64 v40, v19, v21, s[40:41]                  // 000000002D58: D1000028 00A22B13
	v_perm_b32 v115, v40, v39, s52                             // 000000002D60: D1ED0073 00D24F28
	buffer_load_dwordx4 a[204:207], v203, s[20:23], 0 offen    // 000000002D68: E05C1000 8085CCCB
	buffer_load_dwordx4 a[208:211], v204, s[20:23], 0 offen    // 000000002D70: E05C1000 8085D0CC
	ds_write_b64 v13, v[112:113] offset:4096                   // 000000002D78: D89A1000 0000700D
	ds_write_b64 v13, v[114:115] offset:6144                   // 000000002D80: D89A1800 0000720D
	buffer_load_dwordx4 a[212:215], v205, s[20:23], 0 offen    // 000000002D88: E05C1000 8085D4CD
	s_waitcnt lgkmcnt(0)                                       // 000000002D90: BF8CC07F
	s_barrier                                                  // 000000002D94: BF8A0000
	ds_read_b64 v[112:113], v12 offset:4096                    // 000000002D98: D8EC1000 7000000C
	ds_read_b64 v[114:115], v12 offset:4224                    // 000000002DA0: D8EC1080 7200000C
	ds_read_b64 v[116:117], v12 offset:5120                    // 000000002DA8: D8EC1400 7400000C
	ds_read_b64 v[118:119], v12 offset:5248                    // 000000002DB0: D8EC1480 7600000C
	ds_read_b64 v[120:121], v12 offset:6144                    // 000000002DB8: D8EC1800 7800000C
	ds_read_b64 v[122:123], v12 offset:6272                    // 000000002DC0: D8EC1880 7A00000C
	ds_read_b64 v[124:125], v12 offset:7168                    // 000000002DC8: D8EC1C00 7C00000C
	ds_read_b64 v[126:127], v12 offset:7296                    // 000000002DD0: D8EC1C80 7E00000C
	buffer_load_dwordx4 a[216:219], v206, s[20:23], 0 offen    // 000000002DD8: E05C1000 8085D8CE
	s_waitcnt lgkmcnt(0)                                       // 000000002DE0: BF8CC07F
	v_mov_b32_dpp v128, v112 row_shl:8 row_mask:0xf bank_mask:0xf bound_ctrl:1// 000000002DE4: 7F0002FA FF090870
	v_and_b32_e32 v112, v112, v9                               // 000000002DEC: 26E01370
	v_mov_b32_dpp v129, v113 row_shl:8 row_mask:0xf bank_mask:0xf bound_ctrl:1// 000000002DF0: 7F0202FA FF090871
	v_and_b32_e32 v113, v113, v9                               // 000000002DF8: 26E21371
	v_mov_b32_dpp v130, v114 row_shl:8 row_mask:0xf bank_mask:0xf bound_ctrl:1// 000000002DFC: 7F0402FA FF090872
	v_and_b32_e32 v114, v114, v9                               // 000000002E04: 26E41372
	v_mov_b32_dpp v131, v115 row_shl:8 row_mask:0xf bank_mask:0xf bound_ctrl:1// 000000002E08: 7F0602FA FF090873
	v_and_b32_e32 v115, v115, v9                               // 000000002E10: 26E61373
	v_mov_b32_dpp v132, v116 row_shl:8 row_mask:0xf bank_mask:0xf bound_ctrl:1// 000000002E14: 7F0802FA FF090874
	v_and_b32_e32 v116, v116, v9                               // 000000002E1C: 26E81374
	v_mov_b32_dpp v133, v117 row_shl:8 row_mask:0xf bank_mask:0xf bound_ctrl:1// 000000002E20: 7F0A02FA FF090875
	v_and_b32_e32 v117, v117, v9                               // 000000002E28: 26EA1375
	v_mov_b32_dpp v134, v118 row_shl:8 row_mask:0xf bank_mask:0xf bound_ctrl:1// 000000002E2C: 7F0C02FA FF090876
	v_and_b32_e32 v118, v118, v9                               // 000000002E34: 26EC1376
	v_mov_b32_dpp v135, v119 row_shl:8 row_mask:0xf bank_mask:0xf bound_ctrl:1// 000000002E38: 7F0E02FA FF090877
	v_and_b32_e32 v119, v119, v9                               // 000000002E40: 26EE1377
	v_mov_b32_dpp v136, v120 row_shl:8 row_mask:0xf bank_mask:0xf bound_ctrl:1// 000000002E44: 7F1002FA FF090878
	v_and_b32_e32 v120, v120, v9                               // 000000002E4C: 26F01378
	v_mov_b32_dpp v137, v121 row_shl:8 row_mask:0xf bank_mask:0xf bound_ctrl:1// 000000002E50: 7F1202FA FF090879
	v_and_b32_e32 v121, v121, v9                               // 000000002E58: 26F21379
	v_mov_b32_dpp v138, v122 row_shl:8 row_mask:0xf bank_mask:0xf bound_ctrl:1// 000000002E5C: 7F1402FA FF09087A
	v_and_b32_e32 v122, v122, v9                               // 000000002E64: 26F4137A
	v_mov_b32_dpp v139, v123 row_shl:8 row_mask:0xf bank_mask:0xf bound_ctrl:1// 000000002E68: 7F1602FA FF09087B
	v_and_b32_e32 v123, v123, v9                               // 000000002E70: 26F6137B
	v_mov_b32_dpp v140, v124 row_shl:8 row_mask:0xf bank_mask:0xf bound_ctrl:1// 000000002E74: 7F1802FA FF09087C
	v_and_b32_e32 v124, v124, v9                               // 000000002E7C: 26F8137C
	v_mov_b32_dpp v141, v125 row_shl:8 row_mask:0xf bank_mask:0xf bound_ctrl:1// 000000002E80: 7F1A02FA FF09087D
	v_and_b32_e32 v125, v125, v9                               // 000000002E88: 26FA137D
	v_mov_b32_dpp v142, v126 row_shl:8 row_mask:0xf bank_mask:0xf bound_ctrl:1// 000000002E8C: 7F1C02FA FF09087E
	v_and_b32_e32 v126, v126, v9                               // 000000002E94: 26FC137E
	v_mov_b32_dpp v143, v127 row_shl:8 row_mask:0xf bank_mask:0xf bound_ctrl:1// 000000002E98: 7F1E02FA FF09087F
	v_and_b32_e32 v127, v127, v9                               // 000000002EA0: 26FE137F
	buffer_load_dwordx4 a[220:223], v207, s[20:23], 0 offen    // 000000002EA4: E05C1000 8085DCCF
	v_mul_f32_e32 v176, v51, v176                              // 000000002EAC: 0B616133
	v_mul_f32_e32 v177, v51, v177                              // 000000002EB0: 0B636333
	v_mul_f32_e32 v178, v51, v178                              // 000000002EB4: 0B656533
	v_mul_f32_e32 v179, v51, v179                              // 000000002EB8: 0B676733
	v_mul_f32_e32 v180, v51, v180                              // 000000002EBC: 0B696933
	v_mul_f32_e32 v181, v51, v181                              // 000000002EC0: 0B6B6B33
	v_mul_f32_e32 v182, v51, v182                              // 000000002EC4: 0B6D6D33
	v_mul_f32_e32 v183, v51, v183                              // 000000002EC8: 0B6F6F33
	s_waitcnt vmcnt(24)                                        // 000000002ECC: BF8C4F78
	v_mfma_f32_16x16x16_bf16 v[176:179], a[128:129], v[112:113], v[176:179]// 000000002ED0: D3E100B0 0EC2E180
	v_mfma_f32_16x16x16_bf16 v[176:179], a[130:131], v[114:115], v[176:179]// 000000002ED8: D3E100B0 0EC2E582
	buffer_load_dwordx4 a[224:227], v200, s[20:23], 0 offen offset:1024// 000000002EE0: E05C1400 8085E0C8
	v_mfma_f32_16x16x16_bf16 v[176:179], a[132:133], v[116:117], v[176:179]// 000000002EE8: D3E100B0 0EC2E984
	v_mfma_f32_16x16x16_bf16 v[176:179], a[134:135], v[118:119], v[176:179]// 000000002EF0: D3E100B0 0EC2ED86
	v_mfma_f32_16x16x16_bf16 v[176:179], a[136:137], v[120:121], v[176:179]// 000000002EF8: D3E100B0 0EC2F188
	v_mfma_f32_16x16x16_bf16 v[176:179], a[138:139], v[122:123], v[176:179]// 000000002F00: D3E100B0 0EC2F58A
	buffer_load_dwordx4 a[228:231], v201, s[20:23], 0 offen offset:1024// 000000002F08: E05C1400 8085E4C9
	v_mfma_f32_16x16x16_bf16 v[176:179], a[140:141], v[124:125], v[176:179]// 000000002F10: D3E100B0 0EC2F98C
	v_mfma_f32_16x16x16_bf16 v[176:179], a[142:143], v[126:127], v[176:179]// 000000002F18: D3E100B0 0EC2FD8E
	v_mfma_f32_16x16x16_bf16 v[176:179], a[144:145], v[128:129], v[176:179]// 000000002F20: D3E100B0 0EC30190
	v_mfma_f32_16x16x16_bf16 v[176:179], a[146:147], v[130:131], v[176:179]// 000000002F28: D3E100B0 0EC30592
	buffer_load_dwordx4 a[232:235], v202, s[20:23], 0 offen offset:1024// 000000002F30: E05C1400 8085E8CA
	v_mfma_f32_16x16x16_bf16 v[176:179], a[148:149], v[132:133], v[176:179]// 000000002F38: D3E100B0 0EC30994
	v_mfma_f32_16x16x16_bf16 v[176:179], a[150:151], v[134:135], v[176:179]// 000000002F40: D3E100B0 0EC30D96
	v_mfma_f32_16x16x16_bf16 v[176:179], a[152:153], v[136:137], v[176:179]// 000000002F48: D3E100B0 0EC31198
	v_mfma_f32_16x16x16_bf16 v[176:179], a[154:155], v[138:139], v[176:179]// 000000002F50: D3E100B0 0EC3159A
	buffer_load_dwordx4 a[236:239], v203, s[20:23], 0 offen offset:1024// 000000002F58: E05C1400 8085ECCB
	v_mfma_f32_16x16x16_bf16 v[176:179], a[156:157], v[140:141], v[176:179]// 000000002F60: D3E100B0 0EC3199C
	v_mfma_f32_16x16x16_bf16 v[176:179], a[158:159], v[142:143], v[176:179]// 000000002F68: D3E100B0 0EC31D9E
	v_mfma_f32_16x16x16_bf16 v[180:183], a[160:161], v[112:113], v[180:183]// 000000002F70: D3E100B4 0ED2E1A0
	v_mfma_f32_16x16x16_bf16 v[180:183], a[162:163], v[114:115], v[180:183]// 000000002F78: D3E100B4 0ED2E5A2
	buffer_load_dwordx4 a[240:243], v204, s[20:23], 0 offen offset:1024// 000000002F80: E05C1400 8085F0CC
	v_mfma_f32_16x16x16_bf16 v[180:183], a[164:165], v[116:117], v[180:183]// 000000002F88: D3E100B4 0ED2E9A4
	v_mfma_f32_16x16x16_bf16 v[180:183], a[166:167], v[118:119], v[180:183]// 000000002F90: D3E100B4 0ED2EDA6
	v_mfma_f32_16x16x16_bf16 v[180:183], a[168:169], v[120:121], v[180:183]// 000000002F98: D3E100B4 0ED2F1A8
	v_mfma_f32_16x16x16_bf16 v[180:183], a[170:171], v[122:123], v[180:183]// 000000002FA0: D3E100B4 0ED2F5AA
	buffer_load_dwordx4 a[244:247], v205, s[20:23], 0 offen offset:1024// 000000002FA8: E05C1400 8085F4CD
	v_mfma_f32_16x16x16_bf16 v[180:183], a[172:173], v[124:125], v[180:183]// 000000002FB0: D3E100B4 0ED2F9AC
	v_mfma_f32_16x16x16_bf16 v[180:183], a[174:175], v[126:127], v[180:183]// 000000002FB8: D3E100B4 0ED2FDAE
	v_mfma_f32_16x16x16_bf16 v[180:183], a[176:177], v[128:129], v[180:183]// 000000002FC0: D3E100B4 0ED301B0
	v_mfma_f32_16x16x16_bf16 v[180:183], a[178:179], v[130:131], v[180:183]// 000000002FC8: D3E100B4 0ED305B2
	buffer_load_dwordx4 a[248:251], v206, s[20:23], 0 offen offset:1024// 000000002FD0: E05C1400 8085F8CE
	v_mfma_f32_16x16x16_bf16 v[180:183], a[180:181], v[132:133], v[180:183]// 000000002FD8: D3E100B4 0ED309B4
	v_mfma_f32_16x16x16_bf16 v[180:183], a[182:183], v[134:135], v[180:183]// 000000002FE0: D3E100B4 0ED30DB6
	v_mfma_f32_16x16x16_bf16 v[180:183], a[184:185], v[136:137], v[180:183]// 000000002FE8: D3E100B4 0ED311B8
	v_mfma_f32_16x16x16_bf16 v[180:183], a[186:187], v[138:139], v[180:183]// 000000002FF0: D3E100B4 0ED315BA
	buffer_load_dwordx4 a[252:255], v207, s[20:23], 0 offen offset:1024// 000000002FF8: E05C1400 8085FCCF
	v_mfma_f32_16x16x16_bf16 v[180:183], a[188:189], v[140:141], v[180:183]// 000000003000: D3E100B4 0ED319BC
	v_mfma_f32_16x16x16_bf16 v[180:183], a[190:191], v[142:143], v[180:183]// 000000003008: D3E100B4 0ED31DBE
	s_lshr_b32 s60, s70, 4                                     // 000000003010: 8F3C8446
	s_add_u32 s60, 48, s60                                     // 000000003014: 803C3CB0
	s_cmp_ge_u32 s60, s73                                      // 000000003018: BF09493C
	s_cselect_b32 s56, 0, s56                                  // 00000000301C: 85383880
	v_mul_u32_u24_dpp v39, v17, v54 row_newbcast:0 row_mask:0xf bank_mask:0xf// 000000003020: 104E6CFA FF015011
	v_mul_u32_u24_dpp v40, v17, v54 row_newbcast:4 row_mask:0xf bank_mask:0xf// 000000003028: 10506CFA FF015411
	v_mul_u32_u24_dpp v41, v17, v54 row_newbcast:8 row_mask:0xf bank_mask:0xf// 000000003030: 10526CFA FF015811
	v_mul_u32_u24_dpp v42, v17, v54 row_newbcast:12 row_mask:0xf bank_mask:0xf// 000000003038: 10546CFA FF015C11
	v_add_u32_e32 v23, v39, v6                                 // 000000003040: 682E0D27
	v_add_u32_e32 v24, v40, v6                                 // 000000003044: 68300D28
	v_add_u32_e32 v25, v41, v6                                 // 000000003048: 68320D29
	v_add_u32_e32 v26, v42, v6                                 // 00000000304C: 68340D2A
	v_mul_u32_u24_dpp v39, v17, v54 row_newbcast:1 row_mask:0xf bank_mask:0xf// 000000003050: 104E6CFA FF015111
	v_mul_u32_u24_dpp v40, v17, v54 row_newbcast:2 row_mask:0xf bank_mask:0xf// 000000003058: 10506CFA FF015211
	v_mul_u32_u24_dpp v41, v17, v54 row_newbcast:5 row_mask:0xf bank_mask:0xf// 000000003060: 10526CFA FF015511
	v_mul_u32_u24_dpp v42, v17, v54 row_newbcast:6 row_mask:0xf bank_mask:0xf// 000000003068: 10546CFA FF015611
	v_add_u32_e32 v192, v39, v7                                // 000000003070: 69800F27
	v_add_u32_e32 v193, v40, v7                                // 000000003074: 69820F28
	v_add_u32_e32 v194, v41, v7                                // 000000003078: 69840F29
	v_add_u32_e32 v195, v42, v7                                // 00000000307C: 69860F2A
	v_mul_u32_u24_dpp v39, v17, v54 row_newbcast:9 row_mask:0xf bank_mask:0xf// 000000003080: 104E6CFA FF015911
	v_mul_u32_u24_dpp v40, v17, v54 row_newbcast:10 row_mask:0xf bank_mask:0xf// 000000003088: 10506CFA FF015A11
	v_mul_u32_u24_dpp v41, v17, v54 row_newbcast:13 row_mask:0xf bank_mask:0xf// 000000003090: 10526CFA FF015D11
	v_mul_u32_u24_dpp v42, v17, v54 row_newbcast:7 row_mask:0xf bank_mask:0xf// 000000003098: 10546CFA FF015711
	v_add_u32_e32 v196, v39, v7                                // 0000000030A0: 69880F27
	v_add_u32_e32 v197, v40, v7                                // 0000000030A4: 698A0F28
	v_add_u32_e32 v198, v41, v7                                // 0000000030A8: 698C0F29
	v_add_u32_e32 v199, v42, v7                                // 0000000030AC: 698E0F2A
	v_add_u32_e32 v1, s56, v1                                  // 0000000030B0: 68020238
	s_addk_i32 s70, 0x100                                      // 0000000030B4: B7460100
	s_cmp_lt_i32 s70, s71                                      // 0000000030B8: BF044746
	s_cbranch_scc0 label_05A7                                  // 0000000030BC: BF8401F7
	s_waitcnt vmcnt(16) lgkmcnt(0)                             // 0000000030C0: BF8C4070
	v_mfma_f32_16x16x16_bf16 v[112:115], a[64:65], v[80:81], 0 // 0000000030C4: D3E10070 0A02A140
	v_mfma_f32_16x16x16_bf16 v[112:115], a[66:67], v[82:83], v[112:115]// 0000000030CC: D3E10070 0DC2A542
	buffer_load_dwordx4 a[0:3], v23, s[16:19], 0 offen         // 0000000030D4: E05C1000 80840017
	v_mfma_f32_16x16x16_bf16 v[112:115], a[68:69], v[84:85], v[112:115]// 0000000030DC: D3E10070 0DC2A944
	v_mfma_f32_16x16x16_bf16 v[112:115], a[70:71], v[86:87], v[112:115]// 0000000030E4: D3E10070 0DC2AD46
	buffer_load_dword v18, v1, s[24:27], 0 offen               // 0000000030EC: E0501000 80061201
	v_mfma_f32_16x16x16_bf16 v[112:115], a[72:73], v[88:89], v[112:115]// 0000000030F4: D3E10070 0DC2B148
	v_mfma_f32_16x16x16_bf16 v[112:115], a[74:75], v[90:91], v[112:115]// 0000000030FC: D3E10070 0DC2B54A
	buffer_load_dwordx4 a[4:7], v23, s[16:19], 0 offen offset:1024// 000000003104: E05C1400 80840417
	v_mfma_f32_16x16x16_bf16 v[112:115], a[76:77], v[92:93], v[112:115]// 00000000310C: D3E10070 0DC2B94C
	v_mfma_f32_16x16x16_bf16 v[112:115], a[78:79], v[94:95], v[112:115]// 000000003114: D3E10070 0DC2BD4E
	v_mfma_f32_16x16x16_bf16 v[116:119], a[80:81], v[80:81], 0 // 00000000311C: D3E10074 0A02A150
	v_mfma_f32_16x16x16_bf16 v[116:119], a[82:83], v[82:83], v[116:119]// 000000003124: D3E10074 0DD2A552
	buffer_load_dwordx4 a[8:11], v23, s[16:19], 0 offen offset:2048// 00000000312C: E05C1800 80840817
	v_mfma_f32_16x16x16_bf16 v[116:119], a[84:85], v[84:85], v[116:119]// 000000003134: D3E10074 0DD2A954
	v_mfma_f32_16x16x16_bf16 v[116:119], a[86:87], v[86:87], v[116:119]// 00000000313C: D3E10074 0DD2AD56
	v_mfma_f32_16x16x16_bf16 v[116:119], a[88:89], v[88:89], v[116:119]// 000000003144: D3E10074 0DD2B158
	v_mfma_f32_16x16x16_bf16 v[116:119], a[90:91], v[90:91], v[116:119]// 00000000314C: D3E10074 0DD2B55A
	buffer_load_dwordx4 a[12:15], v23, s[16:19], 0 offen offset:3072// 000000003154: E05C1C00 80840C17
	v_mfma_f32_16x16x16_bf16 v[116:119], a[92:93], v[92:93], v[116:119]// 00000000315C: D3E10074 0DD2B95C
	v_mfma_f32_16x16x16_bf16 v[116:119], a[94:95], v[94:95], v[116:119]// 000000003164: D3E10074 0DD2BD5E
	v_mfma_f32_16x16x16_bf16 v[120:123], a[96:97], v[80:81], 0 // 00000000316C: D3E10078 0A02A160
	v_mfma_f32_16x16x16_bf16 v[120:123], a[98:99], v[82:83], v[120:123]// 000000003174: D3E10078 0DE2A562
	buffer_load_dwordx4 a[16:19], v24, s[16:19], 0 offen       // 00000000317C: E05C1000 80841018
	v_mfma_f32_16x16x16_bf16 v[120:123], a[100:101], v[84:85], v[120:123]// 000000003184: D3E10078 0DE2A964
	v_mfma_f32_16x16x16_bf16 v[120:123], a[102:103], v[86:87], v[120:123]// 00000000318C: D3E10078 0DE2AD66
	v_mfma_f32_16x16x16_bf16 v[120:123], a[104:105], v[88:89], v[120:123]// 000000003194: D3E10078 0DE2B168
	v_mfma_f32_16x16x16_bf16 v[120:123], a[106:107], v[90:91], v[120:123]// 00000000319C: D3E10078 0DE2B56A
	buffer_load_dwordx4 a[20:23], v24, s[16:19], 0 offen offset:1024// 0000000031A4: E05C1400 80841418
	v_mfma_f32_16x16x16_bf16 v[120:123], a[108:109], v[92:93], v[120:123]// 0000000031AC: D3E10078 0DE2B96C
	v_mfma_f32_16x16x16_bf16 v[120:123], a[110:111], v[94:95], v[120:123]// 0000000031B4: D3E10078 0DE2BD6E
	v_mfma_f32_16x16x16_bf16 v[124:127], a[112:113], v[80:81], 0// 0000000031BC: D3E1007C 0A02A170
	v_mfma_f32_16x16x16_bf16 v[124:127], a[114:115], v[82:83], v[124:127]// 0000000031C4: D3E1007C 0DF2A572
	buffer_load_dwordx4 a[24:27], v24, s[16:19], 0 offen offset:2048// 0000000031CC: E05C1800 80841818
	v_mfma_f32_16x16x16_bf16 v[124:127], a[116:117], v[84:85], v[124:127]// 0000000031D4: D3E1007C 0DF2A974
	v_mfma_f32_16x16x16_bf16 v[124:127], a[118:119], v[86:87], v[124:127]// 0000000031DC: D3E1007C 0DF2AD76
	v_mfma_f32_16x16x16_bf16 v[124:127], a[120:121], v[88:89], v[124:127]// 0000000031E4: D3E1007C 0DF2B178
	v_mfma_f32_16x16x16_bf16 v[124:127], a[122:123], v[90:91], v[124:127]// 0000000031EC: D3E1007C 0DF2B57A
	buffer_load_dwordx4 a[28:31], v24, s[16:19], 0 offen offset:3072// 0000000031F4: E05C1C00 80841C18
	v_mfma_f32_16x16x16_bf16 v[124:127], a[124:125], v[92:93], v[124:127]// 0000000031FC: D3E1007C 0DF2B97C
	v_mfma_f32_16x16x16_bf16 v[124:127], a[126:127], v[94:95], v[124:127]// 000000003204: D3E1007C 0DF2BD7E
	buffer_load_dwordx4 a[32:35], v25, s[16:19], 0 offen       // 00000000320C: E05C1000 80842019
	s_nop 8                                                    // 000000003214: BF800008
	v_or_b32_dpp v112, v120, v112 row_shr:8 row_mask:0xf bank_mask:0xf bound_ctrl:1// 000000003218: 28E0E0FA FF091878
	v_or_b32_dpp v113, v121, v113 row_shr:8 row_mask:0xf bank_mask:0xf bound_ctrl:1// 000000003220: 28E2E2FA FF091879
	v_or_b32_dpp v114, v122, v114 row_shr:8 row_mask:0xf bank_mask:0xf bound_ctrl:1// 000000003228: 28E4E4FA FF09187A
	v_or_b32_dpp v115, v123, v115 row_shr:8 row_mask:0xf bank_mask:0xf bound_ctrl:1// 000000003230: 28E6E6FA FF09187B
	v_or_b32_dpp v116, v124, v116 row_shr:8 row_mask:0xf bank_mask:0xf bound_ctrl:1// 000000003238: 28E8E8FA FF09187C
	v_or_b32_dpp v117, v125, v117 row_shr:8 row_mask:0xf bank_mask:0xf bound_ctrl:1// 000000003240: 28EAEAFA FF09187D
	v_or_b32_dpp v118, v126, v118 row_shr:8 row_mask:0xf bank_mask:0xf bound_ctrl:1// 000000003248: 28ECECFA FF09187E
	v_or_b32_dpp v119, v127, v119 row_shr:8 row_mask:0xf bank_mask:0xf bound_ctrl:1// 000000003250: 28EEEEFA FF09187F
	buffer_load_dwordx4 a[36:39], v25, s[16:19], 0 offen offset:1024// 000000003258: E05C1400 80842419
	v_mov_b32_e32 v50, v112                                    // 000000003260: 7E640370
	v_max3_f32 v50, v112, v113, v50                            // 000000003264: D1D30032 04CAE370
	v_max3_f32 v50, v114, v115, v50                            // 00000000326C: D1D30032 04CAE772
	v_max3_f32 v50, v116, v117, v50                            // 000000003274: D1D30032 04CAEB74
	v_max3_f32 v50, v118, v119, v50                            // 00000000327C: D1D30032 04CAEF76
	ds_write_b32 v11, v50                                      // 000000003284: D81A0000 0000320B
	buffer_load_dwordx4 a[40:43], v25, s[16:19], 0 offen offset:2048// 00000000328C: E05C1800 80842819
	s_waitcnt lgkmcnt(0)                                       // 000000003294: BF8CC07F
	s_barrier                                                  // 000000003298: BF8A0000
	ds_read_b32 v64, v10                                       // 00000000329C: D86C0000 4000000A
	buffer_load_dwordx4 a[44:47], v25, s[16:19], 0 offen offset:3072// 0000000032A4: E05C1C00 80842C19
	ds_read_b32 v65, v10 offset:64                             // 0000000032AC: D86C0040 4100000A
	ds_read_b32 v66, v10 offset:128                            // 0000000032B4: D86C0080 4200000A
	ds_read_b32 v67, v10 offset:192                            // 0000000032BC: D86C00C0 4300000A
	ds_read_b32 v68, v10 offset:256                            // 0000000032C4: D86C0100 4400000A
	ds_read_b32 v69, v10 offset:320                            // 0000000032CC: D86C0140 4500000A
	ds_read_b32 v70, v10 offset:384                            // 0000000032D4: D86C0180 4600000A
	ds_read_b32 v71, v10 offset:448                            // 0000000032DC: D86C01C0 4700000A
	ds_read_b32 v72, v10 offset:512                            // 0000000032E4: D86C0200 4800000A
	buffer_load_dwordx4 a[48:51], v26, s[16:19], 0 offen       // 0000000032EC: E05C1000 8084301A
	ds_read_b32 v73, v10 offset:576                            // 0000000032F4: D86C0240 4900000A
	ds_read_b32 v74, v10 offset:640                            // 0000000032FC: D86C0280 4A00000A
	ds_read_b32 v75, v10 offset:704                            // 000000003304: D86C02C0 4B00000A
	ds_read_b32 v76, v10 offset:768                            // 00000000330C: D86C0300 4C00000A
	ds_read_b32 v77, v10 offset:832                            // 000000003314: D86C0340 4D00000A
	ds_read_b32 v78, v10 offset:896                            // 00000000331C: D86C0380 4E00000A
	ds_read_b32 v79, v10 offset:960                            // 000000003324: D86C03C0 4F00000A
	buffer_load_dwordx4 a[52:55], v26, s[16:19], 0 offen offset:1024// 00000000332C: E05C1400 8084341A
	buffer_load_dwordx4 a[56:59], v26, s[16:19], 0 offen offset:2048// 000000003334: E05C1800 8084381A
	s_waitcnt lgkmcnt(0)                                       // 00000000333C: BF8CC07F
	v_max3_f32 v50, v64, v65, v50                              // 000000003340: D1D30032 04CA8340
	v_max3_f32 v50, v66, v67, v50                              // 000000003348: D1D30032 04CA8742
	v_max3_f32 v50, v68, v69, v50                              // 000000003350: D1D30032 04CA8B44
	v_max3_f32 v50, v70, v71, v50                              // 000000003358: D1D30032 04CA8F46
	v_max3_f32 v50, v72, v73, v50                              // 000000003360: D1D30032 04CA9348
	v_max3_f32 v50, v74, v75, v50                              // 000000003368: D1D30032 04CA974A
	v_max3_f32 v50, v76, v77, v50                              // 000000003370: D1D30032 04CA9B4C
	v_max3_f32 v50, v78, v79, v50                              // 000000003378: D1D30032 04CA9F4E
	buffer_load_dwordx4 a[60:63], v26, s[16:19], 0 offen offset:3072// 000000003380: E05C1C00 80843C1A
	v_cmp_eq_u32_e64 s[40:41], v55, v14                        // 000000003388: D0CA0028 00021D37
	s_nop 1                                                    // 000000003390: BF800001
	v_mov_b32_dpp v39, v50 row_ror:8 row_mask:0xf bank_mask:0xf// 000000003394: 7E4E02FA FF012832
	v_max_f32_e32 v50, v50, v39                                // 00000000339C: 16644F32
	v_max_f32_e32 v16, v50, v14                                // 0000000033A0: 16201D32
	v_sub_f32_e32 v51, v14, v16                                // 0000000033A4: 0466210E
	v_cndmask_b32_e64 v51, v51, 0, s[40:41]                    // 0000000033A8: D1000033 00A10133
	v_mov_b32_e32 v14, v16                                     // 0000000033B0: 7E1C0310
	v_mul_f32_e32 v53, s64, v16                                // 0000000033B4: 0A6A2040
	v_mul_f32_e32 v51, s64, v51                                // 0000000033B8: 0A666640
	v_exp_f32_e32 v51, v51                                     // 0000000033BC: 7E664133
	buffer_load_dwordx4 a[128:131], v192, s[20:23], 0 offen    // 0000000033C0: E05C1000 808580C0
	v_fma_f32 v112, v112, s64, -v53                            // 0000000033C8: D1CB0070 84D48170
	v_fma_f32 v113, v113, s64, -v53                            // 0000000033D0: D1CB0071 84D48171
	v_fma_f32 v114, v114, s64, -v53                            // 0000000033D8: D1CB0072 84D48172
	v_fma_f32 v115, v115, s64, -v53                            // 0000000033E0: D1CB0073 84D48173
	v_fma_f32 v116, v116, s64, -v53                            // 0000000033E8: D1CB0074 84D48174
	v_fma_f32 v117, v117, s64, -v53                            // 0000000033F0: D1CB0075 84D48175
	v_fma_f32 v118, v118, s64, -v53                            // 0000000033F8: D1CB0076 84D48176
	v_fma_f32 v119, v119, s64, -v53                            // 000000003400: D1CB0077 84D48177
	v_exp_f32_e32 v112, v112                                   // 000000003408: 7EE04170
	v_exp_f32_e32 v113, v113                                   // 00000000340C: 7EE24171
	v_exp_f32_e32 v114, v114                                   // 000000003410: 7EE44172
	v_exp_f32_e32 v115, v115                                   // 000000003414: 7EE64173
	v_exp_f32_e32 v116, v116                                   // 000000003418: 7EE84174
	v_exp_f32_e32 v117, v117                                   // 00000000341C: 7EEA4175
	v_exp_f32_e32 v118, v118                                   // 000000003420: 7EEC4176
	v_exp_f32_e32 v119, v119                                   // 000000003424: 7EEE4177
	buffer_load_dwordx4 a[132:135], v193, s[20:23], 0 offen    // 000000003428: E05C1000 808584C1
	v_mul_f32_e32 v43, v51, v43                                // 000000003430: 0A565733
	v_mov_b32_e32 v45, v112                                    // 000000003434: 7E5A0370
	v_add_f32_e32 v45, v113, v45                               // 000000003438: 025A5B71
	v_add_f32_e32 v45, v114, v45                               // 00000000343C: 025A5B72
	v_add_f32_e32 v45, v115, v45                               // 000000003440: 025A5B73
	v_add_f32_e32 v45, v116, v45                               // 000000003444: 025A5B74
	v_add_f32_e32 v45, v117, v45                               // 000000003448: 025A5B75
	v_add_f32_e32 v45, v118, v45                               // 00000000344C: 025A5B76
	v_add_f32_e32 v45, v119, v45                               // 000000003450: 025A5B77
	v_add_f32_e32 v43, v45, v43                                // 000000003454: 0256572D
	buffer_load_dwordx4 a[136:139], v194, s[20:23], 0 offen    // 000000003458: E05C1000 808588C2
	v_cmp_u_f32_e64 s[40:41], v112, v112                       // 000000003460: D0480028 0002E170
	v_add3_u32 v19, v112, v22, 1                               // 000000003468: D1FF0013 02062D70
	v_cndmask_b32_e64 v39, v19, v21, s[40:41]                  // 000000003470: D1000027 00A22B13
	v_cmp_u_f32_e64 s[40:41], v113, v113                       // 000000003478: D0480028 0002E371
	v_add3_u32 v19, v113, v22, 1                               // 000000003480: D1FF0013 02062D71
	v_cndmask_b32_e64 v40, v19, v21, s[40:41]                  // 000000003488: D1000028 00A22B13
	v_perm_b32 v112, v40, v39, s52                             // 000000003490: D1ED0070 00D24F28
	v_cmp_u_f32_e64 s[40:41], v114, v114                       // 000000003498: D0480028 0002E572
	v_add3_u32 v19, v114, v22, 1                               // 0000000034A0: D1FF0013 02062D72
	v_cndmask_b32_e64 v39, v19, v21, s[40:41]                  // 0000000034A8: D1000027 00A22B13
	v_cmp_u_f32_e64 s[40:41], v115, v115                       // 0000000034B0: D0480028 0002E773
	v_add3_u32 v19, v115, v22, 1                               // 0000000034B8: D1FF0013 02062D73
	v_cndmask_b32_e64 v40, v19, v21, s[40:41]                  // 0000000034C0: D1000028 00A22B13
	v_perm_b32 v113, v40, v39, s52                             // 0000000034C8: D1ED0071 00D24F28
	v_cmp_u_f32_e64 s[40:41], v116, v116                       // 0000000034D0: D0480028 0002E974
	v_add3_u32 v19, v116, v22, 1                               // 0000000034D8: D1FF0013 02062D74
	v_cndmask_b32_e64 v39, v19, v21, s[40:41]                  // 0000000034E0: D1000027 00A22B13
	v_cmp_u_f32_e64 s[40:41], v117, v117                       // 0000000034E8: D0480028 0002EB75
	v_add3_u32 v19, v117, v22, 1                               // 0000000034F0: D1FF0013 02062D75
	v_cndmask_b32_e64 v40, v19, v21, s[40:41]                  // 0000000034F8: D1000028 00A22B13
	v_perm_b32 v114, v40, v39, s52                             // 000000003500: D1ED0072 00D24F28
	v_cmp_u_f32_e64 s[40:41], v118, v118                       // 000000003508: D0480028 0002ED76
	v_add3_u32 v19, v118, v22, 1                               // 000000003510: D1FF0013 02062D76
	v_cndmask_b32_e64 v39, v19, v21, s[40:41]                  // 000000003518: D1000027 00A22B13
	v_cmp_u_f32_e64 s[40:41], v119, v119                       // 000000003520: D0480028 0002EF77
	v_add3_u32 v19, v119, v22, 1                               // 000000003528: D1FF0013 02062D77
	v_cndmask_b32_e64 v40, v19, v21, s[40:41]                  // 000000003530: D1000028 00A22B13
	v_perm_b32 v115, v40, v39, s52                             // 000000003538: D1ED0073 00D24F28
	buffer_load_dwordx4 a[140:143], v195, s[20:23], 0 offen    // 000000003540: E05C1000 80858CC3
	buffer_load_dwordx4 a[144:147], v196, s[20:23], 0 offen    // 000000003548: E05C1000 808590C4
	ds_write_b64 v13, v[112:113] offset:4096                   // 000000003550: D89A1000 0000700D
	ds_write_b64 v13, v[114:115] offset:6144                   // 000000003558: D89A1800 0000720D
	buffer_load_dwordx4 a[148:151], v197, s[20:23], 0 offen    // 000000003560: E05C1000 808594C5
	s_waitcnt lgkmcnt(0)                                       // 000000003568: BF8CC07F
	s_barrier                                                  // 00000000356C: BF8A0000
	ds_read_b64 v[112:113], v12 offset:4096                    // 000000003570: D8EC1000 7000000C
	ds_read_b64 v[114:115], v12 offset:4224                    // 000000003578: D8EC1080 7200000C
	ds_read_b64 v[116:117], v12 offset:5120                    // 000000003580: D8EC1400 7400000C
	ds_read_b64 v[118:119], v12 offset:5248                    // 000000003588: D8EC1480 7600000C
	ds_read_b64 v[120:121], v12 offset:6144                    // 000000003590: D8EC1800 7800000C
	ds_read_b64 v[122:123], v12 offset:6272                    // 000000003598: D8EC1880 7A00000C
	ds_read_b64 v[124:125], v12 offset:7168                    // 0000000035A0: D8EC1C00 7C00000C
	ds_read_b64 v[126:127], v12 offset:7296                    // 0000000035A8: D8EC1C80 7E00000C
	buffer_load_dwordx4 a[152:155], v198, s[20:23], 0 offen    // 0000000035B0: E05C1000 808598C6
	s_waitcnt lgkmcnt(0)                                       // 0000000035B8: BF8CC07F
	v_mov_b32_dpp v128, v112 row_shl:8 row_mask:0xf bank_mask:0xf bound_ctrl:1// 0000000035BC: 7F0002FA FF090870
	v_and_b32_e32 v112, v112, v9                               // 0000000035C4: 26E01370
	v_mov_b32_dpp v129, v113 row_shl:8 row_mask:0xf bank_mask:0xf bound_ctrl:1// 0000000035C8: 7F0202FA FF090871
	v_and_b32_e32 v113, v113, v9                               // 0000000035D0: 26E21371
	v_mov_b32_dpp v130, v114 row_shl:8 row_mask:0xf bank_mask:0xf bound_ctrl:1// 0000000035D4: 7F0402FA FF090872
	v_and_b32_e32 v114, v114, v9                               // 0000000035DC: 26E41372
	v_mov_b32_dpp v131, v115 row_shl:8 row_mask:0xf bank_mask:0xf bound_ctrl:1// 0000000035E0: 7F0602FA FF090873
	v_and_b32_e32 v115, v115, v9                               // 0000000035E8: 26E61373
	v_mov_b32_dpp v132, v116 row_shl:8 row_mask:0xf bank_mask:0xf bound_ctrl:1// 0000000035EC: 7F0802FA FF090874
	v_and_b32_e32 v116, v116, v9                               // 0000000035F4: 26E81374
	v_mov_b32_dpp v133, v117 row_shl:8 row_mask:0xf bank_mask:0xf bound_ctrl:1// 0000000035F8: 7F0A02FA FF090875
	v_and_b32_e32 v117, v117, v9                               // 000000003600: 26EA1375
	v_mov_b32_dpp v134, v118 row_shl:8 row_mask:0xf bank_mask:0xf bound_ctrl:1// 000000003604: 7F0C02FA FF090876
	v_and_b32_e32 v118, v118, v9                               // 00000000360C: 26EC1376
	v_mov_b32_dpp v135, v119 row_shl:8 row_mask:0xf bank_mask:0xf bound_ctrl:1// 000000003610: 7F0E02FA FF090877
	v_and_b32_e32 v119, v119, v9                               // 000000003618: 26EE1377
	v_mov_b32_dpp v136, v120 row_shl:8 row_mask:0xf bank_mask:0xf bound_ctrl:1// 00000000361C: 7F1002FA FF090878
	v_and_b32_e32 v120, v120, v9                               // 000000003624: 26F01378
	v_mov_b32_dpp v137, v121 row_shl:8 row_mask:0xf bank_mask:0xf bound_ctrl:1// 000000003628: 7F1202FA FF090879
	v_and_b32_e32 v121, v121, v9                               // 000000003630: 26F21379
	v_mov_b32_dpp v138, v122 row_shl:8 row_mask:0xf bank_mask:0xf bound_ctrl:1// 000000003634: 7F1402FA FF09087A
	v_and_b32_e32 v122, v122, v9                               // 00000000363C: 26F4137A
	v_mov_b32_dpp v139, v123 row_shl:8 row_mask:0xf bank_mask:0xf bound_ctrl:1// 000000003640: 7F1602FA FF09087B
	v_and_b32_e32 v123, v123, v9                               // 000000003648: 26F6137B
	v_mov_b32_dpp v140, v124 row_shl:8 row_mask:0xf bank_mask:0xf bound_ctrl:1// 00000000364C: 7F1802FA FF09087C
	v_and_b32_e32 v124, v124, v9                               // 000000003654: 26F8137C
	v_mov_b32_dpp v141, v125 row_shl:8 row_mask:0xf bank_mask:0xf bound_ctrl:1// 000000003658: 7F1A02FA FF09087D
	v_and_b32_e32 v125, v125, v9                               // 000000003660: 26FA137D
	v_mov_b32_dpp v142, v126 row_shl:8 row_mask:0xf bank_mask:0xf bound_ctrl:1// 000000003664: 7F1C02FA FF09087E
	v_and_b32_e32 v126, v126, v9                               // 00000000366C: 26FC137E
	v_mov_b32_dpp v143, v127 row_shl:8 row_mask:0xf bank_mask:0xf bound_ctrl:1// 000000003670: 7F1E02FA FF09087F
	v_and_b32_e32 v127, v127, v9                               // 000000003678: 26FE137F
	buffer_load_dwordx4 a[156:159], v199, s[20:23], 0 offen    // 00000000367C: E05C1000 80859CC7
	v_mul_f32_e32 v176, v51, v176                              // 000000003684: 0B616133
	v_mul_f32_e32 v177, v51, v177                              // 000000003688: 0B636333
	v_mul_f32_e32 v178, v51, v178                              // 00000000368C: 0B656533
	v_mul_f32_e32 v179, v51, v179                              // 000000003690: 0B676733
	v_mul_f32_e32 v180, v51, v180                              // 000000003694: 0B696933
	v_mul_f32_e32 v181, v51, v181                              // 000000003698: 0B6B6B33
	v_mul_f32_e32 v182, v51, v182                              // 00000000369C: 0B6D6D33
	v_mul_f32_e32 v183, v51, v183                              // 0000000036A0: 0B6F6F33
	s_waitcnt vmcnt(24)                                        // 0000000036A4: BF8C4F78
	v_mfma_f32_16x16x16_bf16 v[176:179], a[192:193], v[112:113], v[176:179]// 0000000036A8: D3E100B0 0EC2E1C0
	v_mfma_f32_16x16x16_bf16 v[176:179], a[194:195], v[114:115], v[176:179]// 0000000036B0: D3E100B0 0EC2E5C2
	buffer_load_dwordx4 a[160:163], v192, s[20:23], 0 offen offset:1024// 0000000036B8: E05C1400 8085A0C0
	v_mfma_f32_16x16x16_bf16 v[176:179], a[196:197], v[116:117], v[176:179]// 0000000036C0: D3E100B0 0EC2E9C4
	v_mfma_f32_16x16x16_bf16 v[176:179], a[198:199], v[118:119], v[176:179]// 0000000036C8: D3E100B0 0EC2EDC6
	v_mfma_f32_16x16x16_bf16 v[176:179], a[200:201], v[120:121], v[176:179]// 0000000036D0: D3E100B0 0EC2F1C8
	v_mfma_f32_16x16x16_bf16 v[176:179], a[202:203], v[122:123], v[176:179]// 0000000036D8: D3E100B0 0EC2F5CA
	buffer_load_dwordx4 a[164:167], v193, s[20:23], 0 offen offset:1024// 0000000036E0: E05C1400 8085A4C1
	v_mfma_f32_16x16x16_bf16 v[176:179], a[204:205], v[124:125], v[176:179]// 0000000036E8: D3E100B0 0EC2F9CC
	v_mfma_f32_16x16x16_bf16 v[176:179], a[206:207], v[126:127], v[176:179]// 0000000036F0: D3E100B0 0EC2FDCE
	v_mfma_f32_16x16x16_bf16 v[176:179], a[208:209], v[128:129], v[176:179]// 0000000036F8: D3E100B0 0EC301D0
	v_mfma_f32_16x16x16_bf16 v[176:179], a[210:211], v[130:131], v[176:179]// 000000003700: D3E100B0 0EC305D2
	buffer_load_dwordx4 a[168:171], v194, s[20:23], 0 offen offset:1024// 000000003708: E05C1400 8085A8C2
	v_mfma_f32_16x16x16_bf16 v[176:179], a[212:213], v[132:133], v[176:179]// 000000003710: D3E100B0 0EC309D4
	v_mfma_f32_16x16x16_bf16 v[176:179], a[214:215], v[134:135], v[176:179]// 000000003718: D3E100B0 0EC30DD6
	v_mfma_f32_16x16x16_bf16 v[176:179], a[216:217], v[136:137], v[176:179]// 000000003720: D3E100B0 0EC311D8
	v_mfma_f32_16x16x16_bf16 v[176:179], a[218:219], v[138:139], v[176:179]// 000000003728: D3E100B0 0EC315DA
	buffer_load_dwordx4 a[172:175], v195, s[20:23], 0 offen offset:1024// 000000003730: E05C1400 8085ACC3
	v_mfma_f32_16x16x16_bf16 v[176:179], a[220:221], v[140:141], v[176:179]// 000000003738: D3E100B0 0EC319DC
	v_mfma_f32_16x16x16_bf16 v[176:179], a[222:223], v[142:143], v[176:179]// 000000003740: D3E100B0 0EC31DDE
	v_mfma_f32_16x16x16_bf16 v[180:183], a[224:225], v[112:113], v[180:183]// 000000003748: D3E100B4 0ED2E1E0
	v_mfma_f32_16x16x16_bf16 v[180:183], a[226:227], v[114:115], v[180:183]// 000000003750: D3E100B4 0ED2E5E2
	buffer_load_dwordx4 a[176:179], v196, s[20:23], 0 offen offset:1024// 000000003758: E05C1400 8085B0C4
	v_mfma_f32_16x16x16_bf16 v[180:183], a[228:229], v[116:117], v[180:183]// 000000003760: D3E100B4 0ED2E9E4
	v_mfma_f32_16x16x16_bf16 v[180:183], a[230:231], v[118:119], v[180:183]// 000000003768: D3E100B4 0ED2EDE6
	v_mfma_f32_16x16x16_bf16 v[180:183], a[232:233], v[120:121], v[180:183]// 000000003770: D3E100B4 0ED2F1E8
	v_mfma_f32_16x16x16_bf16 v[180:183], a[234:235], v[122:123], v[180:183]// 000000003778: D3E100B4 0ED2F5EA
	buffer_load_dwordx4 a[180:183], v197, s[20:23], 0 offen offset:1024// 000000003780: E05C1400 8085B4C5
	v_mfma_f32_16x16x16_bf16 v[180:183], a[236:237], v[124:125], v[180:183]// 000000003788: D3E100B4 0ED2F9EC
	v_mfma_f32_16x16x16_bf16 v[180:183], a[238:239], v[126:127], v[180:183]// 000000003790: D3E100B4 0ED2FDEE
	v_mfma_f32_16x16x16_bf16 v[180:183], a[240:241], v[128:129], v[180:183]// 000000003798: D3E100B4 0ED301F0
	v_mfma_f32_16x16x16_bf16 v[180:183], a[242:243], v[130:131], v[180:183]// 0000000037A0: D3E100B4 0ED305F2
	buffer_load_dwordx4 a[184:187], v198, s[20:23], 0 offen offset:1024// 0000000037A8: E05C1400 8085B8C6
	v_mfma_f32_16x16x16_bf16 v[180:183], a[244:245], v[132:133], v[180:183]// 0000000037B0: D3E100B4 0ED309F4
	v_mfma_f32_16x16x16_bf16 v[180:183], a[246:247], v[134:135], v[180:183]// 0000000037B8: D3E100B4 0ED30DF6
	v_mfma_f32_16x16x16_bf16 v[180:183], a[248:249], v[136:137], v[180:183]// 0000000037C0: D3E100B4 0ED311F8
	v_mfma_f32_16x16x16_bf16 v[180:183], a[250:251], v[138:139], v[180:183]// 0000000037C8: D3E100B4 0ED315FA
	buffer_load_dwordx4 a[188:191], v199, s[20:23], 0 offen offset:1024// 0000000037D0: E05C1400 8085BCC7
	v_mfma_f32_16x16x16_bf16 v[180:183], a[252:253], v[140:141], v[180:183]// 0000000037D8: D3E100B4 0ED319FC
	v_mfma_f32_16x16x16_bf16 v[180:183], a[254:255], v[142:143], v[180:183]// 0000000037E0: D3E100B4 0ED31DFE
	s_lshr_b32 s60, s70, 4                                     // 0000000037E8: 8F3C8446
	s_add_u32 s60, 48, s60                                     // 0000000037EC: 803C3CB0
	s_cmp_ge_u32 s60, s73                                      // 0000000037F0: BF09493C
	s_cselect_b32 s56, 0, s56                                  // 0000000037F4: 85383880
	v_mul_u32_u24_dpp v39, v18, v54 row_newbcast:0 row_mask:0xf bank_mask:0xf// 0000000037F8: 104E6CFA FF015012
	v_mul_u32_u24_dpp v40, v18, v54 row_newbcast:4 row_mask:0xf bank_mask:0xf// 000000003800: 10506CFA FF015412
	v_mul_u32_u24_dpp v41, v18, v54 row_newbcast:8 row_mask:0xf bank_mask:0xf// 000000003808: 10526CFA FF015812
	v_mul_u32_u24_dpp v42, v18, v54 row_newbcast:12 row_mask:0xf bank_mask:0xf// 000000003810: 10546CFA FF015C12
	v_add_u32_e32 v27, v39, v6                                 // 000000003818: 68360D27
	v_add_u32_e32 v28, v40, v6                                 // 00000000381C: 68380D28
	v_add_u32_e32 v29, v41, v6                                 // 000000003820: 683A0D29
	v_add_u32_e32 v30, v42, v6                                 // 000000003824: 683C0D2A
	v_mul_u32_u24_dpp v39, v18, v54 row_newbcast:1 row_mask:0xf bank_mask:0xf// 000000003828: 104E6CFA FF015112
	v_mul_u32_u24_dpp v40, v18, v54 row_newbcast:2 row_mask:0xf bank_mask:0xf// 000000003830: 10506CFA FF015212
	v_mul_u32_u24_dpp v41, v18, v54 row_newbcast:5 row_mask:0xf bank_mask:0xf// 000000003838: 10526CFA FF015512
	v_mul_u32_u24_dpp v42, v18, v54 row_newbcast:6 row_mask:0xf bank_mask:0xf// 000000003840: 10546CFA FF015612
	v_add_u32_e32 v200, v39, v7                                // 000000003848: 69900F27
	v_add_u32_e32 v201, v40, v7                                // 00000000384C: 69920F28
	v_add_u32_e32 v202, v41, v7                                // 000000003850: 69940F29
	v_add_u32_e32 v203, v42, v7                                // 000000003854: 69960F2A
	v_mul_u32_u24_dpp v39, v18, v54 row_newbcast:9 row_mask:0xf bank_mask:0xf// 000000003858: 104E6CFA FF015912
	v_mul_u32_u24_dpp v40, v18, v54 row_newbcast:10 row_mask:0xf bank_mask:0xf// 000000003860: 10506CFA FF015A12
	v_mul_u32_u24_dpp v41, v18, v54 row_newbcast:13 row_mask:0xf bank_mask:0xf// 000000003868: 10526CFA FF015D12
	v_mul_u32_u24_dpp v42, v18, v54 row_newbcast:7 row_mask:0xf bank_mask:0xf// 000000003870: 10546CFA FF015712
	v_add_u32_e32 v204, v39, v7                                // 000000003878: 69980F27
	v_add_u32_e32 v205, v40, v7                                // 00000000387C: 699A0F28
	v_add_u32_e32 v206, v41, v7                                // 000000003880: 699C0F29
	v_add_u32_e32 v207, v42, v7                                // 000000003884: 699E0F2A
	v_add_u32_e32 v1, s56, v1                                  // 000000003888: 68020238
	s_addk_i32 s70, 0x100                                      // 00000000388C: B7460100
	s_cmp_lt_i32 s70, s71                                      // 000000003890: BF044746
	s_cbranch_scc0 label_05A7                                  // 000000003894: BF840001
	s_branch label_01BA                                        // 000000003898: BF82FC13

000000000000389c <label_05A7>:
	s_nop 0                                                    // 00000000389C: BF800000
	s_nop 0                                                    // 0000000038A0: BF800000
	s_branch label_0997                                        // 0000000038A4: BF8203ED

00000000000038a8 <label_05AA>:
	s_waitcnt vmcnt(16) lgkmcnt(0)                             // 0000000038A8: BF8C4070
	v_mfma_f32_16x16x16_bf16 v[112:115], a[0:1], v[80:81], 0   // 0000000038AC: D3E10070 0A02A100
	buffer_load_dwordx4 a[64:67], v27, s[16:19], 0 offen       // 0000000038B4: E05C1000 8084401B
	v_mfma_f32_16x16x16_bf16 v[112:115], a[2:3], v[82:83], v[112:115]// 0000000038BC: D3E10070 0DC2A502
	v_mfma_f32_16x16x16_bf16 v[112:115], a[4:5], v[84:85], v[112:115]// 0000000038C4: D3E10070 0DC2A904
	buffer_load_dword v17, v1, s[24:27], 0 offen               // 0000000038CC: E0501000 80061101
	v_mfma_f32_16x16x16_bf16 v[112:115], a[6:7], v[86:87], v[112:115]// 0000000038D4: D3E10070 0DC2AD06
	v_mfma_f32_16x16x16_bf16 v[112:115], a[8:9], v[88:89], v[112:115]// 0000000038DC: D3E10070 0DC2B108
	buffer_load_dwordx4 a[68:71], v27, s[16:19], 0 offen offset:1024// 0000000038E4: E05C1400 8084441B
	v_mfma_f32_16x16x16_bf16 v[112:115], a[10:11], v[90:91], v[112:115]// 0000000038EC: D3E10070 0DC2B50A
	v_mfma_f32_16x16x16_bf16 v[112:115], a[12:13], v[92:93], v[112:115]// 0000000038F4: D3E10070 0DC2B90C
	v_mfma_f32_16x16x16_bf16 v[112:115], a[14:15], v[94:95], v[112:115]// 0000000038FC: D3E10070 0DC2BD0E
	v_mfma_f32_16x16x16_bf16 v[116:119], a[16:17], v[80:81], 0 // 000000003904: D3E10074 0A02A110
	buffer_load_dwordx4 a[72:75], v27, s[16:19], 0 offen offset:2048// 00000000390C: E05C1800 8084481B
	v_mfma_f32_16x16x16_bf16 v[116:119], a[18:19], v[82:83], v[116:119]// 000000003914: D3E10074 0DD2A512
	v_mfma_f32_16x16x16_bf16 v[116:119], a[20:21], v[84:85], v[116:119]// 00000000391C: D3E10074 0DD2A914
	v_mfma_f32_16x16x16_bf16 v[116:119], a[22:23], v[86:87], v[116:119]// 000000003924: D3E10074 0DD2AD16
	v_mfma_f32_16x16x16_bf16 v[116:119], a[24:25], v[88:89], v[116:119]// 00000000392C: D3E10074 0DD2B118
	buffer_load_dwordx4 a[76:79], v27, s[16:19], 0 offen offset:3072// 000000003934: E05C1C00 80844C1B
	v_mfma_f32_16x16x16_bf16 v[116:119], a[26:27], v[90:91], v[116:119]// 00000000393C: D3E10074 0DD2B51A
	v_mfma_f32_16x16x16_bf16 v[116:119], a[28:29], v[92:93], v[116:119]// 000000003944: D3E10074 0DD2B91C
	v_mfma_f32_16x16x16_bf16 v[116:119], a[30:31], v[94:95], v[116:119]// 00000000394C: D3E10074 0DD2BD1E
	v_mfma_f32_16x16x16_bf16 v[120:123], a[32:33], v[80:81], 0 // 000000003954: D3E10078 0A02A120
	buffer_load_dwordx4 a[80:83], v28, s[16:19], 0 offen       // 00000000395C: E05C1000 8084501C
	v_mfma_f32_16x16x16_bf16 v[120:123], a[34:35], v[82:83], v[120:123]// 000000003964: D3E10078 0DE2A522
	v_mfma_f32_16x16x16_bf16 v[120:123], a[36:37], v[84:85], v[120:123]// 00000000396C: D3E10078 0DE2A924
	v_mfma_f32_16x16x16_bf16 v[120:123], a[38:39], v[86:87], v[120:123]// 000000003974: D3E10078 0DE2AD26
	v_mfma_f32_16x16x16_bf16 v[120:123], a[40:41], v[88:89], v[120:123]// 00000000397C: D3E10078 0DE2B128
	buffer_load_dwordx4 a[84:87], v28, s[16:19], 0 offen offset:1024// 000000003984: E05C1400 8084541C
	v_mfma_f32_16x16x16_bf16 v[120:123], a[42:43], v[90:91], v[120:123]// 00000000398C: D3E10078 0DE2B52A
	v_mfma_f32_16x16x16_bf16 v[120:123], a[44:45], v[92:93], v[120:123]// 000000003994: D3E10078 0DE2B92C
	v_mfma_f32_16x16x16_bf16 v[120:123], a[46:47], v[94:95], v[120:123]// 00000000399C: D3E10078 0DE2BD2E
	v_mfma_f32_16x16x16_bf16 v[124:127], a[48:49], v[80:81], 0 // 0000000039A4: D3E1007C 0A02A130
	buffer_load_dwordx4 a[88:91], v28, s[16:19], 0 offen offset:2048// 0000000039AC: E05C1800 8084581C
	v_mfma_f32_16x16x16_bf16 v[124:127], a[50:51], v[82:83], v[124:127]// 0000000039B4: D3E1007C 0DF2A532
	v_mfma_f32_16x16x16_bf16 v[124:127], a[52:53], v[84:85], v[124:127]// 0000000039BC: D3E1007C 0DF2A934
	v_mfma_f32_16x16x16_bf16 v[124:127], a[54:55], v[86:87], v[124:127]// 0000000039C4: D3E1007C 0DF2AD36
	v_mfma_f32_16x16x16_bf16 v[124:127], a[56:57], v[88:89], v[124:127]// 0000000039CC: D3E1007C 0DF2B138
	buffer_load_dwordx4 a[92:95], v28, s[16:19], 0 offen offset:3072// 0000000039D4: E05C1C00 80845C1C
	v_mfma_f32_16x16x16_bf16 v[124:127], a[58:59], v[90:91], v[124:127]// 0000000039DC: D3E1007C 0DF2B53A
	v_mfma_f32_16x16x16_bf16 v[124:127], a[60:61], v[92:93], v[124:127]// 0000000039E4: D3E1007C 0DF2B93C
	v_mfma_f32_16x16x16_bf16 v[124:127], a[62:63], v[94:95], v[124:127]// 0000000039EC: D3E1007C 0DF2BD3E
	buffer_load_dwordx4 a[96:99], v29, s[16:19], 0 offen       // 0000000039F4: E05C1000 8084601D
	s_nop 8                                                    // 0000000039FC: BF800008
	v_or_b32_dpp v112, v120, v112 row_shr:8 row_mask:0xf bank_mask:0xf bound_ctrl:1// 000000003A00: 28E0E0FA FF091878
	v_or_b32_dpp v113, v121, v113 row_shr:8 row_mask:0xf bank_mask:0xf bound_ctrl:1// 000000003A08: 28E2E2FA FF091879
	v_or_b32_dpp v114, v122, v114 row_shr:8 row_mask:0xf bank_mask:0xf bound_ctrl:1// 000000003A10: 28E4E4FA FF09187A
	v_or_b32_dpp v115, v123, v115 row_shr:8 row_mask:0xf bank_mask:0xf bound_ctrl:1// 000000003A18: 28E6E6FA FF09187B
	v_or_b32_dpp v116, v124, v116 row_shr:8 row_mask:0xf bank_mask:0xf bound_ctrl:1// 000000003A20: 28E8E8FA FF09187C
	v_or_b32_dpp v117, v125, v117 row_shr:8 row_mask:0xf bank_mask:0xf bound_ctrl:1// 000000003A28: 28EAEAFA FF09187D
	v_or_b32_dpp v118, v126, v118 row_shr:8 row_mask:0xf bank_mask:0xf bound_ctrl:1// 000000003A30: 28ECECFA FF09187E
	v_or_b32_dpp v119, v127, v119 row_shr:8 row_mask:0xf bank_mask:0xf bound_ctrl:1// 000000003A38: 28EEEEFA FF09187F
	buffer_load_dwordx4 a[100:103], v29, s[16:19], 0 offen offset:1024// 000000003A40: E05C1400 8084641D
	v_mov_b32_e32 v50, v112                                    // 000000003A48: 7E640370
	v_max3_f32 v50, v112, v113, v50                            // 000000003A4C: D1D30032 04CAE370
	v_max3_f32 v50, v114, v115, v50                            // 000000003A54: D1D30032 04CAE772
	v_max3_f32 v50, v116, v117, v50                            // 000000003A5C: D1D30032 04CAEB74
	v_max3_f32 v50, v118, v119, v50                            // 000000003A64: D1D30032 04CAEF76
	ds_write_b32 v11, v50                                      // 000000003A6C: D81A0000 0000320B
	buffer_load_dwordx4 a[104:107], v29, s[16:19], 0 offen offset:2048// 000000003A74: E05C1800 8084681D
	s_waitcnt lgkmcnt(0)                                       // 000000003A7C: BF8CC07F
	s_barrier                                                  // 000000003A80: BF8A0000
	ds_read_b32 v64, v10                                       // 000000003A84: D86C0000 4000000A
	buffer_load_dwordx4 a[108:111], v29, s[16:19], 0 offen offset:3072// 000000003A8C: E05C1C00 80846C1D
	ds_read_b32 v65, v10 offset:64                             // 000000003A94: D86C0040 4100000A
	ds_read_b32 v66, v10 offset:128                            // 000000003A9C: D86C0080 4200000A
	ds_read_b32 v67, v10 offset:192                            // 000000003AA4: D86C00C0 4300000A
	ds_read_b32 v68, v10 offset:256                            // 000000003AAC: D86C0100 4400000A
	ds_read_b32 v69, v10 offset:320                            // 000000003AB4: D86C0140 4500000A
	ds_read_b32 v70, v10 offset:384                            // 000000003ABC: D86C0180 4600000A
	ds_read_b32 v71, v10 offset:448                            // 000000003AC4: D86C01C0 4700000A
	ds_read_b32 v72, v10 offset:512                            // 000000003ACC: D86C0200 4800000A
	buffer_load_dwordx4 a[112:115], v30, s[16:19], 0 offen     // 000000003AD4: E05C1000 8084701E
	ds_read_b32 v73, v10 offset:576                            // 000000003ADC: D86C0240 4900000A
	ds_read_b32 v74, v10 offset:640                            // 000000003AE4: D86C0280 4A00000A
	ds_read_b32 v75, v10 offset:704                            // 000000003AEC: D86C02C0 4B00000A
	ds_read_b32 v76, v10 offset:768                            // 000000003AF4: D86C0300 4C00000A
	ds_read_b32 v77, v10 offset:832                            // 000000003AFC: D86C0340 4D00000A
	ds_read_b32 v78, v10 offset:896                            // 000000003B04: D86C0380 4E00000A
	ds_read_b32 v79, v10 offset:960                            // 000000003B0C: D86C03C0 4F00000A
	buffer_load_dwordx4 a[116:119], v30, s[16:19], 0 offen offset:1024// 000000003B14: E05C1400 8084741E
	buffer_load_dwordx4 a[120:123], v30, s[16:19], 0 offen offset:2048// 000000003B1C: E05C1800 8084781E
	s_waitcnt lgkmcnt(0)                                       // 000000003B24: BF8CC07F
	v_max3_f32 v50, v64, v65, v50                              // 000000003B28: D1D30032 04CA8340
	v_max3_f32 v50, v66, v67, v50                              // 000000003B30: D1D30032 04CA8742
	v_max3_f32 v50, v68, v69, v50                              // 000000003B38: D1D30032 04CA8B44
	v_max3_f32 v50, v70, v71, v50                              // 000000003B40: D1D30032 04CA8F46
	v_max3_f32 v50, v72, v73, v50                              // 000000003B48: D1D30032 04CA9348
	v_max3_f32 v50, v74, v75, v50                              // 000000003B50: D1D30032 04CA974A
	v_max3_f32 v50, v76, v77, v50                              // 000000003B58: D1D30032 04CA9B4C
	v_max3_f32 v50, v78, v79, v50                              // 000000003B60: D1D30032 04CA9F4E
	buffer_load_dwordx4 a[124:127], v30, s[16:19], 0 offen offset:3072// 000000003B68: E05C1C00 80847C1E
	v_cmp_eq_u32_e64 s[40:41], v55, v14                        // 000000003B70: D0CA0028 00021D37
	s_nop 1                                                    // 000000003B78: BF800001
	v_mov_b32_dpp v39, v50 row_ror:8 row_mask:0xf bank_mask:0xf// 000000003B7C: 7E4E02FA FF012832
	v_max_f32_e32 v50, v50, v39                                // 000000003B84: 16644F32
	v_max_f32_e32 v16, v50, v14                                // 000000003B88: 16201D32
	v_sub_f32_e32 v51, v14, v16                                // 000000003B8C: 0466210E
	v_cndmask_b32_e64 v51, v51, 0, s[40:41]                    // 000000003B90: D1000033 00A10133
	v_mov_b32_e32 v14, v16                                     // 000000003B98: 7E1C0310
	v_mul_f32_e32 v53, s64, v16                                // 000000003B9C: 0A6A2040
	v_mul_f32_e32 v51, s64, v51                                // 000000003BA0: 0A666640
	v_exp_f32_e32 v51, v51                                     // 000000003BA4: 7E664133
	buffer_load_dwordx4 a[192:195], v200, s[20:23], 0 offen    // 000000003BA8: E05C1000 8085C0C8
	v_fma_f32 v112, v112, s64, -v53                            // 000000003BB0: D1CB0070 84D48170
	v_fma_f32 v113, v113, s64, -v53                            // 000000003BB8: D1CB0071 84D48171
	v_fma_f32 v114, v114, s64, -v53                            // 000000003BC0: D1CB0072 84D48172
	v_fma_f32 v115, v115, s64, -v53                            // 000000003BC8: D1CB0073 84D48173
	v_fma_f32 v116, v116, s64, -v53                            // 000000003BD0: D1CB0074 84D48174
	v_fma_f32 v117, v117, s64, -v53                            // 000000003BD8: D1CB0075 84D48175
	v_fma_f32 v118, v118, s64, -v53                            // 000000003BE0: D1CB0076 84D48176
	v_fma_f32 v119, v119, s64, -v53                            // 000000003BE8: D1CB0077 84D48177
	v_exp_f32_e32 v112, v112                                   // 000000003BF0: 7EE04170
	v_exp_f32_e32 v113, v113                                   // 000000003BF4: 7EE24171
	v_exp_f32_e32 v114, v114                                   // 000000003BF8: 7EE44172
	v_exp_f32_e32 v115, v115                                   // 000000003BFC: 7EE64173
	v_exp_f32_e32 v116, v116                                   // 000000003C00: 7EE84174
	v_exp_f32_e32 v117, v117                                   // 000000003C04: 7EEA4175
	v_exp_f32_e32 v118, v118                                   // 000000003C08: 7EEC4176
	v_exp_f32_e32 v119, v119                                   // 000000003C0C: 7EEE4177
	buffer_load_dwordx4 a[196:199], v201, s[20:23], 0 offen    // 000000003C10: E05C1000 8085C4C9
	v_mul_f32_e32 v43, v51, v43                                // 000000003C18: 0A565733
	v_mov_b32_e32 v45, v112                                    // 000000003C1C: 7E5A0370
	v_add_f32_e32 v45, v113, v45                               // 000000003C20: 025A5B71
	v_add_f32_e32 v45, v114, v45                               // 000000003C24: 025A5B72
	v_add_f32_e32 v45, v115, v45                               // 000000003C28: 025A5B73
	v_add_f32_e32 v45, v116, v45                               // 000000003C2C: 025A5B74
	v_add_f32_e32 v45, v117, v45                               // 000000003C30: 025A5B75
	v_add_f32_e32 v45, v118, v45                               // 000000003C34: 025A5B76
	v_add_f32_e32 v45, v119, v45                               // 000000003C38: 025A5B77
	v_add_f32_e32 v43, v45, v43                                // 000000003C3C: 0256572D
	buffer_load_dwordx4 a[200:203], v202, s[20:23], 0 offen    // 000000003C40: E05C1000 8085C8CA
	v_cmp_u_f32_e64 s[40:41], v112, v112                       // 000000003C48: D0480028 0002E170
	v_add3_u32 v19, v112, v22, 1                               // 000000003C50: D1FF0013 02062D70
	v_cndmask_b32_e64 v39, v19, v21, s[40:41]                  // 000000003C58: D1000027 00A22B13
	v_cmp_u_f32_e64 s[40:41], v113, v113                       // 000000003C60: D0480028 0002E371
	v_add3_u32 v19, v113, v22, 1                               // 000000003C68: D1FF0013 02062D71
	v_cndmask_b32_e64 v40, v19, v21, s[40:41]                  // 000000003C70: D1000028 00A22B13
	v_perm_b32 v112, v40, v39, s52                             // 000000003C78: D1ED0070 00D24F28
	v_cmp_u_f32_e64 s[40:41], v114, v114                       // 000000003C80: D0480028 0002E572
	v_add3_u32 v19, v114, v22, 1                               // 000000003C88: D1FF0013 02062D72
	v_cndmask_b32_e64 v39, v19, v21, s[40:41]                  // 000000003C90: D1000027 00A22B13
	v_cmp_u_f32_e64 s[40:41], v115, v115                       // 000000003C98: D0480028 0002E773
	v_add3_u32 v19, v115, v22, 1                               // 000000003CA0: D1FF0013 02062D73
	v_cndmask_b32_e64 v40, v19, v21, s[40:41]                  // 000000003CA8: D1000028 00A22B13
	v_perm_b32 v113, v40, v39, s52                             // 000000003CB0: D1ED0071 00D24F28
	v_cmp_u_f32_e64 s[40:41], v116, v116                       // 000000003CB8: D0480028 0002E974
	v_add3_u32 v19, v116, v22, 1                               // 000000003CC0: D1FF0013 02062D74
	v_cndmask_b32_e64 v39, v19, v21, s[40:41]                  // 000000003CC8: D1000027 00A22B13
	v_cmp_u_f32_e64 s[40:41], v117, v117                       // 000000003CD0: D0480028 0002EB75
	v_add3_u32 v19, v117, v22, 1                               // 000000003CD8: D1FF0013 02062D75
	v_cndmask_b32_e64 v40, v19, v21, s[40:41]                  // 000000003CE0: D1000028 00A22B13
	v_perm_b32 v114, v40, v39, s52                             // 000000003CE8: D1ED0072 00D24F28
	v_cmp_u_f32_e64 s[40:41], v118, v118                       // 000000003CF0: D0480028 0002ED76
	v_add3_u32 v19, v118, v22, 1                               // 000000003CF8: D1FF0013 02062D76
	v_cndmask_b32_e64 v39, v19, v21, s[40:41]                  // 000000003D00: D1000027 00A22B13
	v_cmp_u_f32_e64 s[40:41], v119, v119                       // 000000003D08: D0480028 0002EF77
	v_add3_u32 v19, v119, v22, 1                               // 000000003D10: D1FF0013 02062D77
	v_cndmask_b32_e64 v40, v19, v21, s[40:41]                  // 000000003D18: D1000028 00A22B13
	v_perm_b32 v115, v40, v39, s52                             // 000000003D20: D1ED0073 00D24F28
	buffer_load_dwordx4 a[204:207], v203, s[20:23], 0 offen    // 000000003D28: E05C1000 8085CCCB
	buffer_load_dwordx4 a[208:211], v204, s[20:23], 0 offen    // 000000003D30: E05C1000 8085D0CC
	ds_write_b64 v13, v[112:113] offset:4096                   // 000000003D38: D89A1000 0000700D
	ds_write_b64 v13, v[114:115] offset:6144                   // 000000003D40: D89A1800 0000720D
	buffer_load_dwordx4 a[212:215], v205, s[20:23], 0 offen    // 000000003D48: E05C1000 8085D4CD
	s_waitcnt lgkmcnt(0)                                       // 000000003D50: BF8CC07F
	s_barrier                                                  // 000000003D54: BF8A0000
	ds_read_b64 v[112:113], v12 offset:4096                    // 000000003D58: D8EC1000 7000000C
	ds_read_b64 v[114:115], v12 offset:4224                    // 000000003D60: D8EC1080 7200000C
	ds_read_b64 v[116:117], v12 offset:5120                    // 000000003D68: D8EC1400 7400000C
	ds_read_b64 v[118:119], v12 offset:5248                    // 000000003D70: D8EC1480 7600000C
	ds_read_b64 v[120:121], v12 offset:6144                    // 000000003D78: D8EC1800 7800000C
	ds_read_b64 v[122:123], v12 offset:6272                    // 000000003D80: D8EC1880 7A00000C
	ds_read_b64 v[124:125], v12 offset:7168                    // 000000003D88: D8EC1C00 7C00000C
	ds_read_b64 v[126:127], v12 offset:7296                    // 000000003D90: D8EC1C80 7E00000C
	buffer_load_dwordx4 a[216:219], v206, s[20:23], 0 offen    // 000000003D98: E05C1000 8085D8CE
	s_waitcnt lgkmcnt(0)                                       // 000000003DA0: BF8CC07F
	v_mov_b32_dpp v128, v112 row_shl:8 row_mask:0xf bank_mask:0xf bound_ctrl:1// 000000003DA4: 7F0002FA FF090870
	v_and_b32_e32 v112, v112, v9                               // 000000003DAC: 26E01370
	v_mov_b32_dpp v129, v113 row_shl:8 row_mask:0xf bank_mask:0xf bound_ctrl:1// 000000003DB0: 7F0202FA FF090871
	v_and_b32_e32 v113, v113, v9                               // 000000003DB8: 26E21371
	v_mov_b32_dpp v130, v114 row_shl:8 row_mask:0xf bank_mask:0xf bound_ctrl:1// 000000003DBC: 7F0402FA FF090872
	v_and_b32_e32 v114, v114, v9                               // 000000003DC4: 26E41372
	v_mov_b32_dpp v131, v115 row_shl:8 row_mask:0xf bank_mask:0xf bound_ctrl:1// 000000003DC8: 7F0602FA FF090873
	v_and_b32_e32 v115, v115, v9                               // 000000003DD0: 26E61373
	v_mov_b32_dpp v132, v116 row_shl:8 row_mask:0xf bank_mask:0xf bound_ctrl:1// 000000003DD4: 7F0802FA FF090874
	v_and_b32_e32 v116, v116, v9                               // 000000003DDC: 26E81374
	v_mov_b32_dpp v133, v117 row_shl:8 row_mask:0xf bank_mask:0xf bound_ctrl:1// 000000003DE0: 7F0A02FA FF090875
	v_and_b32_e32 v117, v117, v9                               // 000000003DE8: 26EA1375
	v_mov_b32_dpp v134, v118 row_shl:8 row_mask:0xf bank_mask:0xf bound_ctrl:1// 000000003DEC: 7F0C02FA FF090876
	v_and_b32_e32 v118, v118, v9                               // 000000003DF4: 26EC1376
	v_mov_b32_dpp v135, v119 row_shl:8 row_mask:0xf bank_mask:0xf bound_ctrl:1// 000000003DF8: 7F0E02FA FF090877
	v_and_b32_e32 v119, v119, v9                               // 000000003E00: 26EE1377
	v_mov_b32_dpp v136, v120 row_shl:8 row_mask:0xf bank_mask:0xf bound_ctrl:1// 000000003E04: 7F1002FA FF090878
	v_and_b32_e32 v120, v120, v9                               // 000000003E0C: 26F01378
	v_mov_b32_dpp v137, v121 row_shl:8 row_mask:0xf bank_mask:0xf bound_ctrl:1// 000000003E10: 7F1202FA FF090879
	v_and_b32_e32 v121, v121, v9                               // 000000003E18: 26F21379
	v_mov_b32_dpp v138, v122 row_shl:8 row_mask:0xf bank_mask:0xf bound_ctrl:1// 000000003E1C: 7F1402FA FF09087A
	v_and_b32_e32 v122, v122, v9                               // 000000003E24: 26F4137A
	v_mov_b32_dpp v139, v123 row_shl:8 row_mask:0xf bank_mask:0xf bound_ctrl:1// 000000003E28: 7F1602FA FF09087B
	v_and_b32_e32 v123, v123, v9                               // 000000003E30: 26F6137B
	v_mov_b32_dpp v140, v124 row_shl:8 row_mask:0xf bank_mask:0xf bound_ctrl:1// 000000003E34: 7F1802FA FF09087C
	v_and_b32_e32 v124, v124, v9                               // 000000003E3C: 26F8137C
	v_mov_b32_dpp v141, v125 row_shl:8 row_mask:0xf bank_mask:0xf bound_ctrl:1// 000000003E40: 7F1A02FA FF09087D
	v_and_b32_e32 v125, v125, v9                               // 000000003E48: 26FA137D
	v_mov_b32_dpp v142, v126 row_shl:8 row_mask:0xf bank_mask:0xf bound_ctrl:1// 000000003E4C: 7F1C02FA FF09087E
	v_and_b32_e32 v126, v126, v9                               // 000000003E54: 26FC137E
	v_mov_b32_dpp v143, v127 row_shl:8 row_mask:0xf bank_mask:0xf bound_ctrl:1// 000000003E58: 7F1E02FA FF09087F
	v_and_b32_e32 v127, v127, v9                               // 000000003E60: 26FE137F
	buffer_load_dwordx4 a[220:223], v207, s[20:23], 0 offen    // 000000003E64: E05C1000 8085DCCF
	v_mul_f32_e32 v176, v51, v176                              // 000000003E6C: 0B616133
	v_mul_f32_e32 v177, v51, v177                              // 000000003E70: 0B636333
	v_mul_f32_e32 v178, v51, v178                              // 000000003E74: 0B656533
	v_mul_f32_e32 v179, v51, v179                              // 000000003E78: 0B676733
	v_mul_f32_e32 v180, v51, v180                              // 000000003E7C: 0B696933
	v_mul_f32_e32 v181, v51, v181                              // 000000003E80: 0B6B6B33
	v_mul_f32_e32 v182, v51, v182                              // 000000003E84: 0B6D6D33
	v_mul_f32_e32 v183, v51, v183                              // 000000003E88: 0B6F6F33
	s_waitcnt vmcnt(24)                                        // 000000003E8C: BF8C4F78
	v_mfma_f32_16x16x16_bf16 v[176:179], a[128:129], v[112:113], v[176:179]// 000000003E90: D3E100B0 0EC2E180
	buffer_load_dwordx4 a[224:227], v200, s[20:23], 0 offen offset:1024// 000000003E98: E05C1400 8085E0C8
	v_mfma_f32_16x16x16_bf16 v[176:179], a[130:131], v[114:115], v[176:179]// 000000003EA0: D3E100B0 0EC2E582
	v_mfma_f32_16x16x16_bf16 v[176:179], a[132:133], v[116:117], v[176:179]// 000000003EA8: D3E100B0 0EC2E984
	v_mfma_f32_16x16x16_bf16 v[176:179], a[134:135], v[118:119], v[176:179]// 000000003EB0: D3E100B0 0EC2ED86
	v_mfma_f32_16x16x16_bf16 v[176:179], a[136:137], v[120:121], v[176:179]// 000000003EB8: D3E100B0 0EC2F188
	buffer_load_dwordx4 a[228:231], v201, s[20:23], 0 offen offset:1024// 000000003EC0: E05C1400 8085E4C9
	v_mfma_f32_16x16x16_bf16 v[176:179], a[138:139], v[122:123], v[176:179]// 000000003EC8: D3E100B0 0EC2F58A
	v_mfma_f32_16x16x16_bf16 v[176:179], a[140:141], v[124:125], v[176:179]// 000000003ED0: D3E100B0 0EC2F98C
	v_mfma_f32_16x16x16_bf16 v[176:179], a[142:143], v[126:127], v[176:179]// 000000003ED8: D3E100B0 0EC2FD8E
	v_mfma_f32_16x16x16_bf16 v[176:179], a[144:145], v[128:129], v[176:179]// 000000003EE0: D3E100B0 0EC30190
	buffer_load_dwordx4 a[232:235], v202, s[20:23], 0 offen offset:1024// 000000003EE8: E05C1400 8085E8CA
	v_mfma_f32_16x16x16_bf16 v[176:179], a[146:147], v[130:131], v[176:179]// 000000003EF0: D3E100B0 0EC30592
	v_mfma_f32_16x16x16_bf16 v[176:179], a[148:149], v[132:133], v[176:179]// 000000003EF8: D3E100B0 0EC30994
	v_mfma_f32_16x16x16_bf16 v[176:179], a[150:151], v[134:135], v[176:179]// 000000003F00: D3E100B0 0EC30D96
	v_mfma_f32_16x16x16_bf16 v[176:179], a[152:153], v[136:137], v[176:179]// 000000003F08: D3E100B0 0EC31198
	buffer_load_dwordx4 a[236:239], v203, s[20:23], 0 offen offset:1024// 000000003F10: E05C1400 8085ECCB
	v_mfma_f32_16x16x16_bf16 v[176:179], a[154:155], v[138:139], v[176:179]// 000000003F18: D3E100B0 0EC3159A
	v_mfma_f32_16x16x16_bf16 v[176:179], a[156:157], v[140:141], v[176:179]// 000000003F20: D3E100B0 0EC3199C
	v_mfma_f32_16x16x16_bf16 v[176:179], a[158:159], v[142:143], v[176:179]// 000000003F28: D3E100B0 0EC31D9E
	v_mfma_f32_16x16x16_bf16 v[180:183], a[160:161], v[112:113], v[180:183]// 000000003F30: D3E100B4 0ED2E1A0
	buffer_load_dwordx4 a[240:243], v204, s[20:23], 0 offen offset:1024// 000000003F38: E05C1400 8085F0CC
	v_mfma_f32_16x16x16_bf16 v[180:183], a[162:163], v[114:115], v[180:183]// 000000003F40: D3E100B4 0ED2E5A2
	v_mfma_f32_16x16x16_bf16 v[180:183], a[164:165], v[116:117], v[180:183]// 000000003F48: D3E100B4 0ED2E9A4
	v_mfma_f32_16x16x16_bf16 v[180:183], a[166:167], v[118:119], v[180:183]// 000000003F50: D3E100B4 0ED2EDA6
	v_mfma_f32_16x16x16_bf16 v[180:183], a[168:169], v[120:121], v[180:183]// 000000003F58: D3E100B4 0ED2F1A8
	buffer_load_dwordx4 a[244:247], v205, s[20:23], 0 offen offset:1024// 000000003F60: E05C1400 8085F4CD
	v_mfma_f32_16x16x16_bf16 v[180:183], a[170:171], v[122:123], v[180:183]// 000000003F68: D3E100B4 0ED2F5AA
	v_mfma_f32_16x16x16_bf16 v[180:183], a[172:173], v[124:125], v[180:183]// 000000003F70: D3E100B4 0ED2F9AC
	v_mfma_f32_16x16x16_bf16 v[180:183], a[174:175], v[126:127], v[180:183]// 000000003F78: D3E100B4 0ED2FDAE
	v_mfma_f32_16x16x16_bf16 v[180:183], a[176:177], v[128:129], v[180:183]// 000000003F80: D3E100B4 0ED301B0
	buffer_load_dwordx4 a[248:251], v206, s[20:23], 0 offen offset:1024// 000000003F88: E05C1400 8085F8CE
	v_mfma_f32_16x16x16_bf16 v[180:183], a[178:179], v[130:131], v[180:183]// 000000003F90: D3E100B4 0ED305B2
	v_mfma_f32_16x16x16_bf16 v[180:183], a[180:181], v[132:133], v[180:183]// 000000003F98: D3E100B4 0ED309B4
	v_mfma_f32_16x16x16_bf16 v[180:183], a[182:183], v[134:135], v[180:183]// 000000003FA0: D3E100B4 0ED30DB6
	v_mfma_f32_16x16x16_bf16 v[180:183], a[184:185], v[136:137], v[180:183]// 000000003FA8: D3E100B4 0ED311B8
	buffer_load_dwordx4 a[252:255], v207, s[20:23], 0 offen offset:1024// 000000003FB0: E05C1400 8085FCCF
	v_mfma_f32_16x16x16_bf16 v[180:183], a[186:187], v[138:139], v[180:183]// 000000003FB8: D3E100B4 0ED315BA
	v_mfma_f32_16x16x16_bf16 v[180:183], a[188:189], v[140:141], v[180:183]// 000000003FC0: D3E100B4 0ED319BC
	v_mfma_f32_16x16x16_bf16 v[180:183], a[190:191], v[142:143], v[180:183]// 000000003FC8: D3E100B4 0ED31DBE
	s_lshr_b32 s60, s70, 4                                     // 000000003FD0: 8F3C8446
	s_add_u32 s60, 48, s60                                     // 000000003FD4: 803C3CB0
	s_cmp_ge_u32 s60, s73                                      // 000000003FD8: BF09493C
	s_cselect_b32 s56, 0, s56                                  // 000000003FDC: 85383880
	v_mul_u32_u24_dpp v39, v17, v54 row_newbcast:0 row_mask:0xf bank_mask:0xf// 000000003FE0: 104E6CFA FF015011
	v_mul_u32_u24_dpp v40, v17, v54 row_newbcast:4 row_mask:0xf bank_mask:0xf// 000000003FE8: 10506CFA FF015411
	v_mul_u32_u24_dpp v41, v17, v54 row_newbcast:8 row_mask:0xf bank_mask:0xf// 000000003FF0: 10526CFA FF015811
	v_mul_u32_u24_dpp v42, v17, v54 row_newbcast:12 row_mask:0xf bank_mask:0xf// 000000003FF8: 10546CFA FF015C11
	v_add_u32_e32 v23, v39, v6                                 // 000000004000: 682E0D27
	v_add_u32_e32 v24, v40, v6                                 // 000000004004: 68300D28
	v_add_u32_e32 v25, v41, v6                                 // 000000004008: 68320D29
	v_add_u32_e32 v26, v42, v6                                 // 00000000400C: 68340D2A
	v_mul_u32_u24_dpp v39, v17, v54 row_newbcast:1 row_mask:0xf bank_mask:0xf// 000000004010: 104E6CFA FF015111
	v_mul_u32_u24_dpp v40, v17, v54 row_newbcast:2 row_mask:0xf bank_mask:0xf// 000000004018: 10506CFA FF015211
	v_mul_u32_u24_dpp v41, v17, v54 row_newbcast:5 row_mask:0xf bank_mask:0xf// 000000004020: 10526CFA FF015511
	v_mul_u32_u24_dpp v42, v17, v54 row_newbcast:6 row_mask:0xf bank_mask:0xf// 000000004028: 10546CFA FF015611
	v_add_u32_e32 v192, v39, v7                                // 000000004030: 69800F27
	v_add_u32_e32 v193, v40, v7                                // 000000004034: 69820F28
	v_add_u32_e32 v194, v41, v7                                // 000000004038: 69840F29
	v_add_u32_e32 v195, v42, v7                                // 00000000403C: 69860F2A
	v_mul_u32_u24_dpp v39, v17, v54 row_newbcast:9 row_mask:0xf bank_mask:0xf// 000000004040: 104E6CFA FF015911
	v_mul_u32_u24_dpp v40, v17, v54 row_newbcast:10 row_mask:0xf bank_mask:0xf// 000000004048: 10506CFA FF015A11
	v_mul_u32_u24_dpp v41, v17, v54 row_newbcast:13 row_mask:0xf bank_mask:0xf// 000000004050: 10526CFA FF015D11
	v_mul_u32_u24_dpp v42, v17, v54 row_newbcast:7 row_mask:0xf bank_mask:0xf// 000000004058: 10546CFA FF015711
	v_add_u32_e32 v196, v39, v7                                // 000000004060: 69880F27
	v_add_u32_e32 v197, v40, v7                                // 000000004064: 698A0F28
	v_add_u32_e32 v198, v41, v7                                // 000000004068: 698C0F29
	v_add_u32_e32 v199, v42, v7                                // 00000000406C: 698E0F2A
	v_add_u32_e32 v1, s56, v1                                  // 000000004070: 68020238
	s_addk_i32 s70, 0x100                                      // 000000004074: B7460100
	s_cmp_lt_i32 s70, s71                                      // 000000004078: BF044746
	s_cbranch_scc0 label_05A7                                  // 00000000407C: BF84FE07
	s_waitcnt vmcnt(16) lgkmcnt(0)                             // 000000004080: BF8C4070
	v_mfma_f32_16x16x16_bf16 v[112:115], a[64:65], v[80:81], 0 // 000000004084: D3E10070 0A02A140
	buffer_load_dwordx4 a[0:3], v23, s[16:19], 0 offen         // 00000000408C: E05C1000 80840017
	v_mfma_f32_16x16x16_bf16 v[112:115], a[66:67], v[82:83], v[112:115]// 000000004094: D3E10070 0DC2A542
	v_mfma_f32_16x16x16_bf16 v[112:115], a[68:69], v[84:85], v[112:115]// 00000000409C: D3E10070 0DC2A944
	buffer_load_dword v18, v1, s[24:27], 0 offen               // 0000000040A4: E0501000 80061201
	v_mfma_f32_16x16x16_bf16 v[112:115], a[70:71], v[86:87], v[112:115]// 0000000040AC: D3E10070 0DC2AD46
	v_mfma_f32_16x16x16_bf16 v[112:115], a[72:73], v[88:89], v[112:115]// 0000000040B4: D3E10070 0DC2B148
	buffer_load_dwordx4 a[4:7], v23, s[16:19], 0 offen offset:1024// 0000000040BC: E05C1400 80840417
	v_mfma_f32_16x16x16_bf16 v[112:115], a[74:75], v[90:91], v[112:115]// 0000000040C4: D3E10070 0DC2B54A
	v_mfma_f32_16x16x16_bf16 v[112:115], a[76:77], v[92:93], v[112:115]// 0000000040CC: D3E10070 0DC2B94C
	v_mfma_f32_16x16x16_bf16 v[112:115], a[78:79], v[94:95], v[112:115]// 0000000040D4: D3E10070 0DC2BD4E
	v_mfma_f32_16x16x16_bf16 v[116:119], a[80:81], v[80:81], 0 // 0000000040DC: D3E10074 0A02A150
	buffer_load_dwordx4 a[8:11], v23, s[16:19], 0 offen offset:2048// 0000000040E4: E05C1800 80840817
	v_mfma_f32_16x16x16_bf16 v[116:119], a[82:83], v[82:83], v[116:119]// 0000000040EC: D3E10074 0DD2A552
	v_mfma_f32_16x16x16_bf16 v[116:119], a[84:85], v[84:85], v[116:119]// 0000000040F4: D3E10074 0DD2A954
	v_mfma_f32_16x16x16_bf16 v[116:119], a[86:87], v[86:87], v[116:119]// 0000000040FC: D3E10074 0DD2AD56
	v_mfma_f32_16x16x16_bf16 v[116:119], a[88:89], v[88:89], v[116:119]// 000000004104: D3E10074 0DD2B158
	buffer_load_dwordx4 a[12:15], v23, s[16:19], 0 offen offset:3072// 00000000410C: E05C1C00 80840C17
	v_mfma_f32_16x16x16_bf16 v[116:119], a[90:91], v[90:91], v[116:119]// 000000004114: D3E10074 0DD2B55A
	v_mfma_f32_16x16x16_bf16 v[116:119], a[92:93], v[92:93], v[116:119]// 00000000411C: D3E10074 0DD2B95C
	v_mfma_f32_16x16x16_bf16 v[116:119], a[94:95], v[94:95], v[116:119]// 000000004124: D3E10074 0DD2BD5E
	v_mfma_f32_16x16x16_bf16 v[120:123], a[96:97], v[80:81], 0 // 00000000412C: D3E10078 0A02A160
	buffer_load_dwordx4 a[16:19], v24, s[16:19], 0 offen       // 000000004134: E05C1000 80841018
	v_mfma_f32_16x16x16_bf16 v[120:123], a[98:99], v[82:83], v[120:123]// 00000000413C: D3E10078 0DE2A562
	v_mfma_f32_16x16x16_bf16 v[120:123], a[100:101], v[84:85], v[120:123]// 000000004144: D3E10078 0DE2A964
	v_mfma_f32_16x16x16_bf16 v[120:123], a[102:103], v[86:87], v[120:123]// 00000000414C: D3E10078 0DE2AD66
	v_mfma_f32_16x16x16_bf16 v[120:123], a[104:105], v[88:89], v[120:123]// 000000004154: D3E10078 0DE2B168
	buffer_load_dwordx4 a[20:23], v24, s[16:19], 0 offen offset:1024// 00000000415C: E05C1400 80841418
	v_mfma_f32_16x16x16_bf16 v[120:123], a[106:107], v[90:91], v[120:123]// 000000004164: D3E10078 0DE2B56A
	v_mfma_f32_16x16x16_bf16 v[120:123], a[108:109], v[92:93], v[120:123]// 00000000416C: D3E10078 0DE2B96C
	v_mfma_f32_16x16x16_bf16 v[120:123], a[110:111], v[94:95], v[120:123]// 000000004174: D3E10078 0DE2BD6E
	v_mfma_f32_16x16x16_bf16 v[124:127], a[112:113], v[80:81], 0// 00000000417C: D3E1007C 0A02A170
	buffer_load_dwordx4 a[24:27], v24, s[16:19], 0 offen offset:2048// 000000004184: E05C1800 80841818
	v_mfma_f32_16x16x16_bf16 v[124:127], a[114:115], v[82:83], v[124:127]// 00000000418C: D3E1007C 0DF2A572
	v_mfma_f32_16x16x16_bf16 v[124:127], a[116:117], v[84:85], v[124:127]// 000000004194: D3E1007C 0DF2A974
	v_mfma_f32_16x16x16_bf16 v[124:127], a[118:119], v[86:87], v[124:127]// 00000000419C: D3E1007C 0DF2AD76
	v_mfma_f32_16x16x16_bf16 v[124:127], a[120:121], v[88:89], v[124:127]// 0000000041A4: D3E1007C 0DF2B178
	buffer_load_dwordx4 a[28:31], v24, s[16:19], 0 offen offset:3072// 0000000041AC: E05C1C00 80841C18
	v_mfma_f32_16x16x16_bf16 v[124:127], a[122:123], v[90:91], v[124:127]// 0000000041B4: D3E1007C 0DF2B57A
	v_mfma_f32_16x16x16_bf16 v[124:127], a[124:125], v[92:93], v[124:127]// 0000000041BC: D3E1007C 0DF2B97C
	v_mfma_f32_16x16x16_bf16 v[124:127], a[126:127], v[94:95], v[124:127]// 0000000041C4: D3E1007C 0DF2BD7E
	buffer_load_dwordx4 a[32:35], v25, s[16:19], 0 offen       // 0000000041CC: E05C1000 80842019
	s_nop 8                                                    // 0000000041D4: BF800008
	v_or_b32_dpp v112, v120, v112 row_shr:8 row_mask:0xf bank_mask:0xf bound_ctrl:1// 0000000041D8: 28E0E0FA FF091878
	v_or_b32_dpp v113, v121, v113 row_shr:8 row_mask:0xf bank_mask:0xf bound_ctrl:1// 0000000041E0: 28E2E2FA FF091879
	v_or_b32_dpp v114, v122, v114 row_shr:8 row_mask:0xf bank_mask:0xf bound_ctrl:1// 0000000041E8: 28E4E4FA FF09187A
	v_or_b32_dpp v115, v123, v115 row_shr:8 row_mask:0xf bank_mask:0xf bound_ctrl:1// 0000000041F0: 28E6E6FA FF09187B
	v_or_b32_dpp v116, v124, v116 row_shr:8 row_mask:0xf bank_mask:0xf bound_ctrl:1// 0000000041F8: 28E8E8FA FF09187C
	v_or_b32_dpp v117, v125, v117 row_shr:8 row_mask:0xf bank_mask:0xf bound_ctrl:1// 000000004200: 28EAEAFA FF09187D
	v_or_b32_dpp v118, v126, v118 row_shr:8 row_mask:0xf bank_mask:0xf bound_ctrl:1// 000000004208: 28ECECFA FF09187E
	v_or_b32_dpp v119, v127, v119 row_shr:8 row_mask:0xf bank_mask:0xf bound_ctrl:1// 000000004210: 28EEEEFA FF09187F
	buffer_load_dwordx4 a[36:39], v25, s[16:19], 0 offen offset:1024// 000000004218: E05C1400 80842419
	v_mov_b32_e32 v50, v112                                    // 000000004220: 7E640370
	v_max3_f32 v50, v112, v113, v50                            // 000000004224: D1D30032 04CAE370
	v_max3_f32 v50, v114, v115, v50                            // 00000000422C: D1D30032 04CAE772
	v_max3_f32 v50, v116, v117, v50                            // 000000004234: D1D30032 04CAEB74
	v_max3_f32 v50, v118, v119, v50                            // 00000000423C: D1D30032 04CAEF76
	ds_write_b32 v11, v50                                      // 000000004244: D81A0000 0000320B
	buffer_load_dwordx4 a[40:43], v25, s[16:19], 0 offen offset:2048// 00000000424C: E05C1800 80842819
	s_waitcnt lgkmcnt(0)                                       // 000000004254: BF8CC07F
	s_barrier                                                  // 000000004258: BF8A0000
	ds_read_b32 v64, v10                                       // 00000000425C: D86C0000 4000000A
	buffer_load_dwordx4 a[44:47], v25, s[16:19], 0 offen offset:3072// 000000004264: E05C1C00 80842C19
	ds_read_b32 v65, v10 offset:64                             // 00000000426C: D86C0040 4100000A
	ds_read_b32 v66, v10 offset:128                            // 000000004274: D86C0080 4200000A
	ds_read_b32 v67, v10 offset:192                            // 00000000427C: D86C00C0 4300000A
	ds_read_b32 v68, v10 offset:256                            // 000000004284: D86C0100 4400000A
	ds_read_b32 v69, v10 offset:320                            // 00000000428C: D86C0140 4500000A
	ds_read_b32 v70, v10 offset:384                            // 000000004294: D86C0180 4600000A
	ds_read_b32 v71, v10 offset:448                            // 00000000429C: D86C01C0 4700000A
	ds_read_b32 v72, v10 offset:512                            // 0000000042A4: D86C0200 4800000A
	buffer_load_dwordx4 a[48:51], v26, s[16:19], 0 offen       // 0000000042AC: E05C1000 8084301A
	ds_read_b32 v73, v10 offset:576                            // 0000000042B4: D86C0240 4900000A
	ds_read_b32 v74, v10 offset:640                            // 0000000042BC: D86C0280 4A00000A
	ds_read_b32 v75, v10 offset:704                            // 0000000042C4: D86C02C0 4B00000A
	ds_read_b32 v76, v10 offset:768                            // 0000000042CC: D86C0300 4C00000A
	ds_read_b32 v77, v10 offset:832                            // 0000000042D4: D86C0340 4D00000A
	ds_read_b32 v78, v10 offset:896                            // 0000000042DC: D86C0380 4E00000A
	ds_read_b32 v79, v10 offset:960                            // 0000000042E4: D86C03C0 4F00000A
	buffer_load_dwordx4 a[52:55], v26, s[16:19], 0 offen offset:1024// 0000000042EC: E05C1400 8084341A
	buffer_load_dwordx4 a[56:59], v26, s[16:19], 0 offen offset:2048// 0000000042F4: E05C1800 8084381A
	s_waitcnt lgkmcnt(0)                                       // 0000000042FC: BF8CC07F
	v_max3_f32 v50, v64, v65, v50                              // 000000004300: D1D30032 04CA8340
	v_max3_f32 v50, v66, v67, v50                              // 000000004308: D1D30032 04CA8742
	v_max3_f32 v50, v68, v69, v50                              // 000000004310: D1D30032 04CA8B44
	v_max3_f32 v50, v70, v71, v50                              // 000000004318: D1D30032 04CA8F46
	v_max3_f32 v50, v72, v73, v50                              // 000000004320: D1D30032 04CA9348
	v_max3_f32 v50, v74, v75, v50                              // 000000004328: D1D30032 04CA974A
	v_max3_f32 v50, v76, v77, v50                              // 000000004330: D1D30032 04CA9B4C
	v_max3_f32 v50, v78, v79, v50                              // 000000004338: D1D30032 04CA9F4E
	buffer_load_dwordx4 a[60:63], v26, s[16:19], 0 offen offset:3072// 000000004340: E05C1C00 80843C1A
	v_cmp_eq_u32_e64 s[40:41], v55, v14                        // 000000004348: D0CA0028 00021D37
	s_nop 1                                                    // 000000004350: BF800001
	v_mov_b32_dpp v39, v50 row_ror:8 row_mask:0xf bank_mask:0xf// 000000004354: 7E4E02FA FF012832
	v_max_f32_e32 v50, v50, v39                                // 00000000435C: 16644F32
	v_max_f32_e32 v16, v50, v14                                // 000000004360: 16201D32
	v_sub_f32_e32 v51, v14, v16                                // 000000004364: 0466210E
	v_cndmask_b32_e64 v51, v51, 0, s[40:41]                    // 000000004368: D1000033 00A10133
	v_mov_b32_e32 v14, v16                                     // 000000004370: 7E1C0310
	v_mul_f32_e32 v53, s64, v16                                // 000000004374: 0A6A2040
	v_mul_f32_e32 v51, s64, v51                                // 000000004378: 0A666640
	v_exp_f32_e32 v51, v51                                     // 00000000437C: 7E664133
	buffer_load_dwordx4 a[128:131], v192, s[20:23], 0 offen    // 000000004380: E05C1000 808580C0
	v_fma_f32 v112, v112, s64, -v53                            // 000000004388: D1CB0070 84D48170
	v_fma_f32 v113, v113, s64, -v53                            // 000000004390: D1CB0071 84D48171
	v_fma_f32 v114, v114, s64, -v53                            // 000000004398: D1CB0072 84D48172
	v_fma_f32 v115, v115, s64, -v53                            // 0000000043A0: D1CB0073 84D48173
	v_fma_f32 v116, v116, s64, -v53                            // 0000000043A8: D1CB0074 84D48174
	v_fma_f32 v117, v117, s64, -v53                            // 0000000043B0: D1CB0075 84D48175
	v_fma_f32 v118, v118, s64, -v53                            // 0000000043B8: D1CB0076 84D48176
	v_fma_f32 v119, v119, s64, -v53                            // 0000000043C0: D1CB0077 84D48177
	v_exp_f32_e32 v112, v112                                   // 0000000043C8: 7EE04170
	v_exp_f32_e32 v113, v113                                   // 0000000043CC: 7EE24171
	v_exp_f32_e32 v114, v114                                   // 0000000043D0: 7EE44172
	v_exp_f32_e32 v115, v115                                   // 0000000043D4: 7EE64173
	v_exp_f32_e32 v116, v116                                   // 0000000043D8: 7EE84174
	v_exp_f32_e32 v117, v117                                   // 0000000043DC: 7EEA4175
	v_exp_f32_e32 v118, v118                                   // 0000000043E0: 7EEC4176
	v_exp_f32_e32 v119, v119                                   // 0000000043E4: 7EEE4177
	buffer_load_dwordx4 a[132:135], v193, s[20:23], 0 offen    // 0000000043E8: E05C1000 808584C1
	v_mul_f32_e32 v43, v51, v43                                // 0000000043F0: 0A565733
	v_mov_b32_e32 v45, v112                                    // 0000000043F4: 7E5A0370
	v_add_f32_e32 v45, v113, v45                               // 0000000043F8: 025A5B71
	v_add_f32_e32 v45, v114, v45                               // 0000000043FC: 025A5B72
	v_add_f32_e32 v45, v115, v45                               // 000000004400: 025A5B73
	v_add_f32_e32 v45, v116, v45                               // 000000004404: 025A5B74
	v_add_f32_e32 v45, v117, v45                               // 000000004408: 025A5B75
	v_add_f32_e32 v45, v118, v45                               // 00000000440C: 025A5B76
	v_add_f32_e32 v45, v119, v45                               // 000000004410: 025A5B77
	v_add_f32_e32 v43, v45, v43                                // 000000004414: 0256572D
	buffer_load_dwordx4 a[136:139], v194, s[20:23], 0 offen    // 000000004418: E05C1000 808588C2
	v_cmp_u_f32_e64 s[40:41], v112, v112                       // 000000004420: D0480028 0002E170
	v_add3_u32 v19, v112, v22, 1                               // 000000004428: D1FF0013 02062D70
	v_cndmask_b32_e64 v39, v19, v21, s[40:41]                  // 000000004430: D1000027 00A22B13
	v_cmp_u_f32_e64 s[40:41], v113, v113                       // 000000004438: D0480028 0002E371
	v_add3_u32 v19, v113, v22, 1                               // 000000004440: D1FF0013 02062D71
	v_cndmask_b32_e64 v40, v19, v21, s[40:41]                  // 000000004448: D1000028 00A22B13
	v_perm_b32 v112, v40, v39, s52                             // 000000004450: D1ED0070 00D24F28
	v_cmp_u_f32_e64 s[40:41], v114, v114                       // 000000004458: D0480028 0002E572
	v_add3_u32 v19, v114, v22, 1                               // 000000004460: D1FF0013 02062D72
	v_cndmask_b32_e64 v39, v19, v21, s[40:41]                  // 000000004468: D1000027 00A22B13
	v_cmp_u_f32_e64 s[40:41], v115, v115                       // 000000004470: D0480028 0002E773
	v_add3_u32 v19, v115, v22, 1                               // 000000004478: D1FF0013 02062D73
	v_cndmask_b32_e64 v40, v19, v21, s[40:41]                  // 000000004480: D1000028 00A22B13
	v_perm_b32 v113, v40, v39, s52                             // 000000004488: D1ED0071 00D24F28
	v_cmp_u_f32_e64 s[40:41], v116, v116                       // 000000004490: D0480028 0002E974
	v_add3_u32 v19, v116, v22, 1                               // 000000004498: D1FF0013 02062D74
	v_cndmask_b32_e64 v39, v19, v21, s[40:41]                  // 0000000044A0: D1000027 00A22B13
	v_cmp_u_f32_e64 s[40:41], v117, v117                       // 0000000044A8: D0480028 0002EB75
	v_add3_u32 v19, v117, v22, 1                               // 0000000044B0: D1FF0013 02062D75
	v_cndmask_b32_e64 v40, v19, v21, s[40:41]                  // 0000000044B8: D1000028 00A22B13
	v_perm_b32 v114, v40, v39, s52                             // 0000000044C0: D1ED0072 00D24F28
	v_cmp_u_f32_e64 s[40:41], v118, v118                       // 0000000044C8: D0480028 0002ED76
	v_add3_u32 v19, v118, v22, 1                               // 0000000044D0: D1FF0013 02062D76
	v_cndmask_b32_e64 v39, v19, v21, s[40:41]                  // 0000000044D8: D1000027 00A22B13
	v_cmp_u_f32_e64 s[40:41], v119, v119                       // 0000000044E0: D0480028 0002EF77
	v_add3_u32 v19, v119, v22, 1                               // 0000000044E8: D1FF0013 02062D77
	v_cndmask_b32_e64 v40, v19, v21, s[40:41]                  // 0000000044F0: D1000028 00A22B13
	v_perm_b32 v115, v40, v39, s52                             // 0000000044F8: D1ED0073 00D24F28
	buffer_load_dwordx4 a[140:143], v195, s[20:23], 0 offen    // 000000004500: E05C1000 80858CC3
	buffer_load_dwordx4 a[144:147], v196, s[20:23], 0 offen    // 000000004508: E05C1000 808590C4
	ds_write_b64 v13, v[112:113] offset:4096                   // 000000004510: D89A1000 0000700D
	ds_write_b64 v13, v[114:115] offset:6144                   // 000000004518: D89A1800 0000720D
	buffer_load_dwordx4 a[148:151], v197, s[20:23], 0 offen    // 000000004520: E05C1000 808594C5
	s_waitcnt lgkmcnt(0)                                       // 000000004528: BF8CC07F
	s_barrier                                                  // 00000000452C: BF8A0000
	ds_read_b64 v[112:113], v12 offset:4096                    // 000000004530: D8EC1000 7000000C
	ds_read_b64 v[114:115], v12 offset:4224                    // 000000004538: D8EC1080 7200000C
	ds_read_b64 v[116:117], v12 offset:5120                    // 000000004540: D8EC1400 7400000C
	ds_read_b64 v[118:119], v12 offset:5248                    // 000000004548: D8EC1480 7600000C
	ds_read_b64 v[120:121], v12 offset:6144                    // 000000004550: D8EC1800 7800000C
	ds_read_b64 v[122:123], v12 offset:6272                    // 000000004558: D8EC1880 7A00000C
	ds_read_b64 v[124:125], v12 offset:7168                    // 000000004560: D8EC1C00 7C00000C
	ds_read_b64 v[126:127], v12 offset:7296                    // 000000004568: D8EC1C80 7E00000C
	buffer_load_dwordx4 a[152:155], v198, s[20:23], 0 offen    // 000000004570: E05C1000 808598C6
	s_waitcnt lgkmcnt(0)                                       // 000000004578: BF8CC07F
	v_mov_b32_dpp v128, v112 row_shl:8 row_mask:0xf bank_mask:0xf bound_ctrl:1// 00000000457C: 7F0002FA FF090870
	v_and_b32_e32 v112, v112, v9                               // 000000004584: 26E01370
	v_mov_b32_dpp v129, v113 row_shl:8 row_mask:0xf bank_mask:0xf bound_ctrl:1// 000000004588: 7F0202FA FF090871
	v_and_b32_e32 v113, v113, v9                               // 000000004590: 26E21371
	v_mov_b32_dpp v130, v114 row_shl:8 row_mask:0xf bank_mask:0xf bound_ctrl:1// 000000004594: 7F0402FA FF090872
	v_and_b32_e32 v114, v114, v9                               // 00000000459C: 26E41372
	v_mov_b32_dpp v131, v115 row_shl:8 row_mask:0xf bank_mask:0xf bound_ctrl:1// 0000000045A0: 7F0602FA FF090873
	v_and_b32_e32 v115, v115, v9                               // 0000000045A8: 26E61373
	v_mov_b32_dpp v132, v116 row_shl:8 row_mask:0xf bank_mask:0xf bound_ctrl:1// 0000000045AC: 7F0802FA FF090874
	v_and_b32_e32 v116, v116, v9                               // 0000000045B4: 26E81374
	v_mov_b32_dpp v133, v117 row_shl:8 row_mask:0xf bank_mask:0xf bound_ctrl:1// 0000000045B8: 7F0A02FA FF090875
	v_and_b32_e32 v117, v117, v9                               // 0000000045C0: 26EA1375
	v_mov_b32_dpp v134, v118 row_shl:8 row_mask:0xf bank_mask:0xf bound_ctrl:1// 0000000045C4: 7F0C02FA FF090876
	v_and_b32_e32 v118, v118, v9                               // 0000000045CC: 26EC1376
	v_mov_b32_dpp v135, v119 row_shl:8 row_mask:0xf bank_mask:0xf bound_ctrl:1// 0000000045D0: 7F0E02FA FF090877
	v_and_b32_e32 v119, v119, v9                               // 0000000045D8: 26EE1377
	v_mov_b32_dpp v136, v120 row_shl:8 row_mask:0xf bank_mask:0xf bound_ctrl:1// 0000000045DC: 7F1002FA FF090878
	v_and_b32_e32 v120, v120, v9                               // 0000000045E4: 26F01378
	v_mov_b32_dpp v137, v121 row_shl:8 row_mask:0xf bank_mask:0xf bound_ctrl:1// 0000000045E8: 7F1202FA FF090879
	v_and_b32_e32 v121, v121, v9                               // 0000000045F0: 26F21379
	v_mov_b32_dpp v138, v122 row_shl:8 row_mask:0xf bank_mask:0xf bound_ctrl:1// 0000000045F4: 7F1402FA FF09087A
	v_and_b32_e32 v122, v122, v9                               // 0000000045FC: 26F4137A
	v_mov_b32_dpp v139, v123 row_shl:8 row_mask:0xf bank_mask:0xf bound_ctrl:1// 000000004600: 7F1602FA FF09087B
	v_and_b32_e32 v123, v123, v9                               // 000000004608: 26F6137B
	v_mov_b32_dpp v140, v124 row_shl:8 row_mask:0xf bank_mask:0xf bound_ctrl:1// 00000000460C: 7F1802FA FF09087C
	v_and_b32_e32 v124, v124, v9                               // 000000004614: 26F8137C
	v_mov_b32_dpp v141, v125 row_shl:8 row_mask:0xf bank_mask:0xf bound_ctrl:1// 000000004618: 7F1A02FA FF09087D
	v_and_b32_e32 v125, v125, v9                               // 000000004620: 26FA137D
	v_mov_b32_dpp v142, v126 row_shl:8 row_mask:0xf bank_mask:0xf bound_ctrl:1// 000000004624: 7F1C02FA FF09087E
	v_and_b32_e32 v126, v126, v9                               // 00000000462C: 26FC137E
	v_mov_b32_dpp v143, v127 row_shl:8 row_mask:0xf bank_mask:0xf bound_ctrl:1// 000000004630: 7F1E02FA FF09087F
	v_and_b32_e32 v127, v127, v9                               // 000000004638: 26FE137F
	buffer_load_dwordx4 a[156:159], v199, s[20:23], 0 offen    // 00000000463C: E05C1000 80859CC7
	v_mul_f32_e32 v176, v51, v176                              // 000000004644: 0B616133
	v_mul_f32_e32 v177, v51, v177                              // 000000004648: 0B636333
	v_mul_f32_e32 v178, v51, v178                              // 00000000464C: 0B656533
	v_mul_f32_e32 v179, v51, v179                              // 000000004650: 0B676733
	v_mul_f32_e32 v180, v51, v180                              // 000000004654: 0B696933
	v_mul_f32_e32 v181, v51, v181                              // 000000004658: 0B6B6B33
	v_mul_f32_e32 v182, v51, v182                              // 00000000465C: 0B6D6D33
	v_mul_f32_e32 v183, v51, v183                              // 000000004660: 0B6F6F33
	s_waitcnt vmcnt(24)                                        // 000000004664: BF8C4F78
	v_mfma_f32_16x16x16_bf16 v[176:179], a[192:193], v[112:113], v[176:179]// 000000004668: D3E100B0 0EC2E1C0
	buffer_load_dwordx4 a[160:163], v192, s[20:23], 0 offen offset:1024// 000000004670: E05C1400 8085A0C0
	v_mfma_f32_16x16x16_bf16 v[176:179], a[194:195], v[114:115], v[176:179]// 000000004678: D3E100B0 0EC2E5C2
	v_mfma_f32_16x16x16_bf16 v[176:179], a[196:197], v[116:117], v[176:179]// 000000004680: D3E100B0 0EC2E9C4
	v_mfma_f32_16x16x16_bf16 v[176:179], a[198:199], v[118:119], v[176:179]// 000000004688: D3E100B0 0EC2EDC6
	v_mfma_f32_16x16x16_bf16 v[176:179], a[200:201], v[120:121], v[176:179]// 000000004690: D3E100B0 0EC2F1C8
	buffer_load_dwordx4 a[164:167], v193, s[20:23], 0 offen offset:1024// 000000004698: E05C1400 8085A4C1
	v_mfma_f32_16x16x16_bf16 v[176:179], a[202:203], v[122:123], v[176:179]// 0000000046A0: D3E100B0 0EC2F5CA
	v_mfma_f32_16x16x16_bf16 v[176:179], a[204:205], v[124:125], v[176:179]// 0000000046A8: D3E100B0 0EC2F9CC
	v_mfma_f32_16x16x16_bf16 v[176:179], a[206:207], v[126:127], v[176:179]// 0000000046B0: D3E100B0 0EC2FDCE
	v_mfma_f32_16x16x16_bf16 v[176:179], a[208:209], v[128:129], v[176:179]// 0000000046B8: D3E100B0 0EC301D0
	buffer_load_dwordx4 a[168:171], v194, s[20:23], 0 offen offset:1024// 0000000046C0: E05C1400 8085A8C2
	v_mfma_f32_16x16x16_bf16 v[176:179], a[210:211], v[130:131], v[176:179]// 0000000046C8: D3E100B0 0EC305D2
	v_mfma_f32_16x16x16_bf16 v[176:179], a[212:213], v[132:133], v[176:179]// 0000000046D0: D3E100B0 0EC309D4
	v_mfma_f32_16x16x16_bf16 v[176:179], a[214:215], v[134:135], v[176:179]// 0000000046D8: D3E100B0 0EC30DD6
	v_mfma_f32_16x16x16_bf16 v[176:179], a[216:217], v[136:137], v[176:179]// 0000000046E0: D3E100B0 0EC311D8
	buffer_load_dwordx4 a[172:175], v195, s[20:23], 0 offen offset:1024// 0000000046E8: E05C1400 8085ACC3
	v_mfma_f32_16x16x16_bf16 v[176:179], a[218:219], v[138:139], v[176:179]// 0000000046F0: D3E100B0 0EC315DA
	v_mfma_f32_16x16x16_bf16 v[176:179], a[220:221], v[140:141], v[176:179]// 0000000046F8: D3E100B0 0EC319DC
	v_mfma_f32_16x16x16_bf16 v[176:179], a[222:223], v[142:143], v[176:179]// 000000004700: D3E100B0 0EC31DDE
	v_mfma_f32_16x16x16_bf16 v[180:183], a[224:225], v[112:113], v[180:183]// 000000004708: D3E100B4 0ED2E1E0
	buffer_load_dwordx4 a[176:179], v196, s[20:23], 0 offen offset:1024// 000000004710: E05C1400 8085B0C4
	v_mfma_f32_16x16x16_bf16 v[180:183], a[226:227], v[114:115], v[180:183]// 000000004718: D3E100B4 0ED2E5E2
	v_mfma_f32_16x16x16_bf16 v[180:183], a[228:229], v[116:117], v[180:183]// 000000004720: D3E100B4 0ED2E9E4
	v_mfma_f32_16x16x16_bf16 v[180:183], a[230:231], v[118:119], v[180:183]// 000000004728: D3E100B4 0ED2EDE6
	v_mfma_f32_16x16x16_bf16 v[180:183], a[232:233], v[120:121], v[180:183]// 000000004730: D3E100B4 0ED2F1E8
	buffer_load_dwordx4 a[180:183], v197, s[20:23], 0 offen offset:1024// 000000004738: E05C1400 8085B4C5
	v_mfma_f32_16x16x16_bf16 v[180:183], a[234:235], v[122:123], v[180:183]// 000000004740: D3E100B4 0ED2F5EA
	v_mfma_f32_16x16x16_bf16 v[180:183], a[236:237], v[124:125], v[180:183]// 000000004748: D3E100B4 0ED2F9EC
	v_mfma_f32_16x16x16_bf16 v[180:183], a[238:239], v[126:127], v[180:183]// 000000004750: D3E100B4 0ED2FDEE
	v_mfma_f32_16x16x16_bf16 v[180:183], a[240:241], v[128:129], v[180:183]// 000000004758: D3E100B4 0ED301F0
	buffer_load_dwordx4 a[184:187], v198, s[20:23], 0 offen offset:1024// 000000004760: E05C1400 8085B8C6
	v_mfma_f32_16x16x16_bf16 v[180:183], a[242:243], v[130:131], v[180:183]// 000000004768: D3E100B4 0ED305F2
	v_mfma_f32_16x16x16_bf16 v[180:183], a[244:245], v[132:133], v[180:183]// 000000004770: D3E100B4 0ED309F4
	v_mfma_f32_16x16x16_bf16 v[180:183], a[246:247], v[134:135], v[180:183]// 000000004778: D3E100B4 0ED30DF6
	v_mfma_f32_16x16x16_bf16 v[180:183], a[248:249], v[136:137], v[180:183]// 000000004780: D3E100B4 0ED311F8
	buffer_load_dwordx4 a[188:191], v199, s[20:23], 0 offen offset:1024// 000000004788: E05C1400 8085BCC7
	v_mfma_f32_16x16x16_bf16 v[180:183], a[250:251], v[138:139], v[180:183]// 000000004790: D3E100B4 0ED315FA
	v_mfma_f32_16x16x16_bf16 v[180:183], a[252:253], v[140:141], v[180:183]// 000000004798: D3E100B4 0ED319FC
	v_mfma_f32_16x16x16_bf16 v[180:183], a[254:255], v[142:143], v[180:183]// 0000000047A0: D3E100B4 0ED31DFE
	s_lshr_b32 s60, s70, 4                                     // 0000000047A8: 8F3C8446
	s_add_u32 s60, 48, s60                                     // 0000000047AC: 803C3CB0
	s_cmp_ge_u32 s60, s73                                      // 0000000047B0: BF09493C
	s_cselect_b32 s56, 0, s56                                  // 0000000047B4: 85383880
	v_mul_u32_u24_dpp v39, v18, v54 row_newbcast:0 row_mask:0xf bank_mask:0xf// 0000000047B8: 104E6CFA FF015012
	v_mul_u32_u24_dpp v40, v18, v54 row_newbcast:4 row_mask:0xf bank_mask:0xf// 0000000047C0: 10506CFA FF015412
	v_mul_u32_u24_dpp v41, v18, v54 row_newbcast:8 row_mask:0xf bank_mask:0xf// 0000000047C8: 10526CFA FF015812
	v_mul_u32_u24_dpp v42, v18, v54 row_newbcast:12 row_mask:0xf bank_mask:0xf// 0000000047D0: 10546CFA FF015C12
	v_add_u32_e32 v27, v39, v6                                 // 0000000047D8: 68360D27
	v_add_u32_e32 v28, v40, v6                                 // 0000000047DC: 68380D28
	v_add_u32_e32 v29, v41, v6                                 // 0000000047E0: 683A0D29
	v_add_u32_e32 v30, v42, v6                                 // 0000000047E4: 683C0D2A
	v_mul_u32_u24_dpp v39, v18, v54 row_newbcast:1 row_mask:0xf bank_mask:0xf// 0000000047E8: 104E6CFA FF015112
	v_mul_u32_u24_dpp v40, v18, v54 row_newbcast:2 row_mask:0xf bank_mask:0xf// 0000000047F0: 10506CFA FF015212
	v_mul_u32_u24_dpp v41, v18, v54 row_newbcast:5 row_mask:0xf bank_mask:0xf// 0000000047F8: 10526CFA FF015512
	v_mul_u32_u24_dpp v42, v18, v54 row_newbcast:6 row_mask:0xf bank_mask:0xf// 000000004800: 10546CFA FF015612
	v_add_u32_e32 v200, v39, v7                                // 000000004808: 69900F27
	v_add_u32_e32 v201, v40, v7                                // 00000000480C: 69920F28
	v_add_u32_e32 v202, v41, v7                                // 000000004810: 69940F29
	v_add_u32_e32 v203, v42, v7                                // 000000004814: 69960F2A
	v_mul_u32_u24_dpp v39, v18, v54 row_newbcast:9 row_mask:0xf bank_mask:0xf// 000000004818: 104E6CFA FF015912
	v_mul_u32_u24_dpp v40, v18, v54 row_newbcast:10 row_mask:0xf bank_mask:0xf// 000000004820: 10506CFA FF015A12
	v_mul_u32_u24_dpp v41, v18, v54 row_newbcast:13 row_mask:0xf bank_mask:0xf// 000000004828: 10526CFA FF015D12
	v_mul_u32_u24_dpp v42, v18, v54 row_newbcast:7 row_mask:0xf bank_mask:0xf// 000000004830: 10546CFA FF015712
	v_add_u32_e32 v204, v39, v7                                // 000000004838: 69980F27
	v_add_u32_e32 v205, v40, v7                                // 00000000483C: 699A0F28
	v_add_u32_e32 v206, v41, v7                                // 000000004840: 699C0F29
	v_add_u32_e32 v207, v42, v7                                // 000000004844: 699E0F2A
	v_add_u32_e32 v1, s56, v1                                  // 000000004848: 68020238
	s_addk_i32 s70, 0x100                                      // 00000000484C: B7460100
	s_cmp_lt_i32 s70, s71                                      // 000000004850: BF044746
	s_cbranch_scc0 label_05A7                                  // 000000004854: BF84FC11
	s_branch label_05AA                                        // 000000004858: BF82FC13

000000000000485c <label_0997>:
	s_lshr_b32 s60, s71, 4                                     // 00000000485C: 8F3C8447
	s_cmp_eq_i32 s60, s73                                      // 000000004860: BF00493C
	s_cbranch_scc1 label_0F21                                  // 000000004864: BF850586
	s_and_b32 s60, s72, 0xff                                   // 000000004868: 863CFF48 000000FF
	s_cmp_le_i32 s60, 64                                       // 000000004870: BF05C03C
	s_cbranch_scc0 label_0B2D                                  // 000000004874: BF84018E
	s_lshr_b32 s60, s71, 8                                     // 000000004878: 8F3C8847
	s_and_b32 s60, s60, 1                                      // 00000000487C: 863C813C
	s_cmp_eq_i32 s60, 1                                        // 000000004880: BF00813C
	s_cbranch_scc1 label_0A67                                  // 000000004884: BF8500C5
	s_waitcnt vmcnt(16) lgkmcnt(0)                             // 000000004888: BF8C4070
	v_mfma_f32_16x16x16_bf16 v[112:115], a[0:1], v[80:81], 0   // 00000000488C: D3E10070 0A02A100
	v_mfma_f32_16x16x16_bf16 v[112:115], a[2:3], v[82:83], v[112:115]// 000000004894: D3E10070 0DC2A502
	v_mfma_f32_16x16x16_bf16 v[112:115], a[4:5], v[84:85], v[112:115]// 00000000489C: D3E10070 0DC2A904
	v_mfma_f32_16x16x16_bf16 v[112:115], a[6:7], v[86:87], v[112:115]// 0000000048A4: D3E10070 0DC2AD06
	v_mfma_f32_16x16x16_bf16 v[112:115], a[8:9], v[88:89], v[112:115]// 0000000048AC: D3E10070 0DC2B108
	v_mfma_f32_16x16x16_bf16 v[112:115], a[10:11], v[90:91], v[112:115]// 0000000048B4: D3E10070 0DC2B50A
	v_mfma_f32_16x16x16_bf16 v[112:115], a[12:13], v[92:93], v[112:115]// 0000000048BC: D3E10070 0DC2B90C
	v_mfma_f32_16x16x16_bf16 v[112:115], a[14:15], v[94:95], v[112:115]// 0000000048C4: D3E10070 0DC2BD0E
	s_and_b32 s60, s72, 0xff                                   // 0000000048CC: 863CFF48 000000FF
	v_mov_b32_e32 v56, s60                                     // 0000000048D4: 7E70023C
	v_lshrrev_b32_e32 v31, 4, v0                               // 0000000048D8: 203E0084
	v_mul_i32_i24_e32 v31, 4, v31                              // 0000000048DC: 0C3E3E84
	s_mul_i32 s60, s7, 16                                      // 0000000048E0: 923C9007
	v_add_u32_e32 v31, s60, v31                                // 0000000048E4: 683E3E3C
	v_add_u32_e32 v32, 1, v31                                  // 0000000048E8: 68403E81
	v_add_u32_e32 v33, 2, v31                                  // 0000000048EC: 68423E82
	v_add_u32_e32 v34, 3, v31                                  // 0000000048F0: 68443E83
	v_and_b32_e32 v39, v55, v9                                 // 0000000048F4: 264E1337
	v_cmp_lt_u32_e64 s[40:41], v31, v56                        // 0000000048F8: D0C90028 0002711F
	v_add_u32_e32 v31, 64, v31                                 // 000000004900: 683E3EC0
	s_nop 0                                                    // 000000004904: BF800000
	v_cndmask_b32_e64 v112, v39, v112, s[40:41]                // 000000004908: D1000070 00A2E127
	v_cmp_lt_u32_e64 s[40:41], v32, v56                        // 000000004910: D0C90028 00027120
	v_add_u32_e32 v32, 64, v32                                 // 000000004918: 684040C0
	s_nop 0                                                    // 00000000491C: BF800000
	v_cndmask_b32_e64 v113, v39, v113, s[40:41]                // 000000004920: D1000071 00A2E327
	v_cmp_lt_u32_e64 s[40:41], v33, v56                        // 000000004928: D0C90028 00027121
	v_add_u32_e32 v33, 64, v33                                 // 000000004930: 684242C0
	s_nop 0                                                    // 000000004934: BF800000
	v_cndmask_b32_e64 v114, v39, v114, s[40:41]                // 000000004938: D1000072 00A2E527
	v_cmp_lt_u32_e64 s[40:41], v34, v56                        // 000000004940: D0C90028 00027122
	v_add_u32_e32 v34, 64, v34                                 // 000000004948: 684444C0
	s_nop 0                                                    // 00000000494C: BF800000
	v_cndmask_b32_e64 v115, v39, v115, s[40:41]                // 000000004950: D1000073 00A2E727
	s_nop 1                                                    // 000000004958: BF800001
	v_or_b32_dpp v112, v114, v112 row_shr:8 row_mask:0xf bank_mask:0xf bound_ctrl:1// 00000000495C: 28E0E0FA FF091872
	v_or_b32_dpp v113, v115, v113 row_shr:8 row_mask:0xf bank_mask:0xf bound_ctrl:1// 000000004964: 28E2E2FA FF091873
	v_max_f32_e32 v50, v112, v113                              // 00000000496C: 1664E370
	ds_write_b32 v11, v50                                      // 000000004970: D81A0000 0000320B
	s_waitcnt lgkmcnt(0)                                       // 000000004978: BF8CC07F
	s_barrier                                                  // 00000000497C: BF8A0000
	ds_read_b32 v64, v10                                       // 000000004980: D86C0000 4000000A
	ds_read_b32 v65, v10 offset:64                             // 000000004988: D86C0040 4100000A
	ds_read_b32 v66, v10 offset:128                            // 000000004990: D86C0080 4200000A
	ds_read_b32 v67, v10 offset:192                            // 000000004998: D86C00C0 4300000A
	ds_read_b32 v68, v10 offset:256                            // 0000000049A0: D86C0100 4400000A
	ds_read_b32 v69, v10 offset:320                            // 0000000049A8: D86C0140 4500000A
	ds_read_b32 v70, v10 offset:384                            // 0000000049B0: D86C0180 4600000A
	ds_read_b32 v71, v10 offset:448                            // 0000000049B8: D86C01C0 4700000A
	ds_read_b32 v72, v10 offset:512                            // 0000000049C0: D86C0200 4800000A
	ds_read_b32 v73, v10 offset:576                            // 0000000049C8: D86C0240 4900000A
	ds_read_b32 v74, v10 offset:640                            // 0000000049D0: D86C0280 4A00000A
	ds_read_b32 v75, v10 offset:704                            // 0000000049D8: D86C02C0 4B00000A
	ds_read_b32 v76, v10 offset:768                            // 0000000049E0: D86C0300 4C00000A
	ds_read_b32 v77, v10 offset:832                            // 0000000049E8: D86C0340 4D00000A
	ds_read_b32 v78, v10 offset:896                            // 0000000049F0: D86C0380 4E00000A
	ds_read_b32 v79, v10 offset:960                            // 0000000049F8: D86C03C0 4F00000A
	s_waitcnt lgkmcnt(0)                                       // 000000004A00: BF8CC07F
	v_max3_f32 v50, v64, v65, v50                              // 000000004A04: D1D30032 04CA8340
	v_max3_f32 v50, v66, v67, v50                              // 000000004A0C: D1D30032 04CA8742
	v_max3_f32 v50, v68, v69, v50                              // 000000004A14: D1D30032 04CA8B44
	v_max3_f32 v50, v70, v71, v50                              // 000000004A1C: D1D30032 04CA8F46
	v_max3_f32 v50, v72, v73, v50                              // 000000004A24: D1D30032 04CA9348
	v_max3_f32 v50, v74, v75, v50                              // 000000004A2C: D1D30032 04CA974A
	v_max3_f32 v50, v76, v77, v50                              // 000000004A34: D1D30032 04CA9B4C
	v_max3_f32 v50, v78, v79, v50                              // 000000004A3C: D1D30032 04CA9F4E
	s_nop 1                                                    // 000000004A44: BF800001
	v_mov_b32_dpp v39, v50 row_ror:8 row_mask:0xf bank_mask:0xf// 000000004A48: 7E4E02FA FF012832
	v_max_f32_e32 v50, v50, v39                                // 000000004A50: 16644F32
	v_max_f32_e32 v16, v50, v14                                // 000000004A54: 16201D32
	v_sub_f32_e32 v51, v14, v16                                // 000000004A58: 0466210E
	v_mov_b32_e32 v14, v16                                     // 000000004A5C: 7E1C0310
	v_mul_f32_e32 v53, s64, v16                                // 000000004A60: 0A6A2040
	v_mul_f32_e32 v51, s64, v51                                // 000000004A64: 0A666640
	v_exp_f32_e32 v51, v51                                     // 000000004A68: 7E664133
	v_fma_f32 v112, v112, s64, -v53                            // 000000004A6C: D1CB0070 84D48170
	v_fma_f32 v113, v113, s64, -v53                            // 000000004A74: D1CB0071 84D48171
	v_exp_f32_e32 v112, v112                                   // 000000004A7C: 7EE04170
	v_exp_f32_e32 v113, v113                                   // 000000004A80: 7EE24171
	v_mul_f32_e32 v43, v51, v43                                // 000000004A84: 0A565733
	v_mov_b32_e32 v45, v112                                    // 000000004A88: 7E5A0370
	v_add_f32_e32 v45, v113, v45                               // 000000004A8C: 025A5B71
	v_add_f32_e32 v43, v45, v43                                // 000000004A90: 0256572D
	v_cmp_u_f32_e64 s[40:41], v112, v112                       // 000000004A94: D0480028 0002E170
	v_add3_u32 v19, v112, v22, 1                               // 000000004A9C: D1FF0013 02062D70
	v_cndmask_b32_e64 v39, v19, v21, s[40:41]                  // 000000004AA4: D1000027 00A22B13
	v_cmp_u_f32_e64 s[40:41], v113, v113                       // 000000004AAC: D0480028 0002E371
	v_add3_u32 v19, v113, v22, 1                               // 000000004AB4: D1FF0013 02062D71
	v_cndmask_b32_e64 v40, v19, v21, s[40:41]                  // 000000004ABC: D1000028 00A22B13
	v_perm_b32 v112, v40, v39, s52                             // 000000004AC4: D1ED0070 00D24F28
	ds_write_b64 v13, v[112:113] offset:4096                   // 000000004ACC: D89A1000 0000700D
	s_waitcnt lgkmcnt(0)                                       // 000000004AD4: BF8CC07F
	s_barrier                                                  // 000000004AD8: BF8A0000
	ds_read_b64 v[112:113], v12 offset:4096                    // 000000004ADC: D8EC1000 7000000C
	ds_read_b64 v[114:115], v12 offset:4224                    // 000000004AE4: D8EC1080 7200000C
	ds_read_b64 v[116:117], v12 offset:5120                    // 000000004AEC: D8EC1400 7400000C
	ds_read_b64 v[118:119], v12 offset:5248                    // 000000004AF4: D8EC1480 7600000C
	s_waitcnt lgkmcnt(0)                                       // 000000004AFC: BF8CC07F
	v_mov_b32_dpp v113, v112 row_shl:8 row_mask:0xf bank_mask:0xf bound_ctrl:1// 000000004B00: 7EE202FA FF090870
	v_and_b32_e32 v112, v112, v9                               // 000000004B08: 26E01370
	v_mov_b32_dpp v115, v114 row_shl:8 row_mask:0xf bank_mask:0xf bound_ctrl:1// 000000004B0C: 7EE602FA FF090872
	v_and_b32_e32 v114, v114, v9                               // 000000004B14: 26E41372
	v_mov_b32_dpp v117, v116 row_shl:8 row_mask:0xf bank_mask:0xf bound_ctrl:1// 000000004B18: 7EEA02FA FF090874
	v_and_b32_e32 v116, v116, v9                               // 000000004B20: 26E81374
	v_mov_b32_dpp v119, v118 row_shl:8 row_mask:0xf bank_mask:0xf bound_ctrl:1// 000000004B24: 7EEE02FA FF090876
	v_and_b32_e32 v118, v118, v9                               // 000000004B2C: 26EC1376
	v_mul_f32_e32 v176, v51, v176                              // 000000004B30: 0B616133
	v_mul_f32_e32 v177, v51, v177                              // 000000004B34: 0B636333
	v_mul_f32_e32 v178, v51, v178                              // 000000004B38: 0B656533
	v_mul_f32_e32 v179, v51, v179                              // 000000004B3C: 0B676733
	v_mul_f32_e32 v180, v51, v180                              // 000000004B40: 0B696933
	v_mul_f32_e32 v181, v51, v181                              // 000000004B44: 0B6B6B33
	v_mul_f32_e32 v182, v51, v182                              // 000000004B48: 0B6D6D33
	v_mul_f32_e32 v183, v51, v183                              // 000000004B4C: 0B6F6F33
	s_waitcnt vmcnt(0)                                         // 000000004B50: BF8C0F70
	v_mfma_f32_16x16x16_bf16 v[176:179], a[128:129], v[112:113], v[176:179]// 000000004B54: D3E100B0 0EC2E180
	v_mfma_f32_16x16x16_bf16 v[176:179], a[130:131], v[114:115], v[176:179]// 000000004B5C: D3E100B0 0EC2E582
	v_mfma_f32_16x16x16_bf16 v[176:179], a[132:133], v[116:117], v[176:179]// 000000004B64: D3E100B0 0EC2E984
	v_mfma_f32_16x16x16_bf16 v[176:179], a[134:135], v[118:119], v[176:179]// 000000004B6C: D3E100B0 0EC2ED86
	v_mfma_f32_16x16x16_bf16 v[180:183], a[160:161], v[112:113], v[180:183]// 000000004B74: D3E100B4 0ED2E1A0
	v_mfma_f32_16x16x16_bf16 v[180:183], a[162:163], v[114:115], v[180:183]// 000000004B7C: D3E100B4 0ED2E5A2
	v_mfma_f32_16x16x16_bf16 v[180:183], a[164:165], v[116:117], v[180:183]// 000000004B84: D3E100B4 0ED2E9A4
	v_mfma_f32_16x16x16_bf16 v[180:183], a[166:167], v[118:119], v[180:183]// 000000004B8C: D3E100B4 0ED2EDA6
	s_nop 8                                                    // 000000004B94: BF800008
	s_branch label_0F21                                        // 000000004B98: BF8204B9

0000000000004b9c <label_0A67>:
	s_waitcnt vmcnt(16) lgkmcnt(0)                             // 000000004B9C: BF8C4070
	v_mfma_f32_16x16x16_bf16 v[112:115], a[64:65], v[80:81], 0 // 000000004BA0: D3E10070 0A02A140
	v_mfma_f32_16x16x16_bf16 v[112:115], a[66:67], v[82:83], v[112:115]// 000000004BA8: D3E10070 0DC2A542
	v_mfma_f32_16x16x16_bf16 v[112:115], a[68:69], v[84:85], v[112:115]// 000000004BB0: D3E10070 0DC2A944
	v_mfma_f32_16x16x16_bf16 v[112:115], a[70:71], v[86:87], v[112:115]// 000000004BB8: D3E10070 0DC2AD46
	v_mfma_f32_16x16x16_bf16 v[112:115], a[72:73], v[88:89], v[112:115]// 000000004BC0: D3E10070 0DC2B148
	v_mfma_f32_16x16x16_bf16 v[112:115], a[74:75], v[90:91], v[112:115]// 000000004BC8: D3E10070 0DC2B54A
	v_mfma_f32_16x16x16_bf16 v[112:115], a[76:77], v[92:93], v[112:115]// 000000004BD0: D3E10070 0DC2B94C
	v_mfma_f32_16x16x16_bf16 v[112:115], a[78:79], v[94:95], v[112:115]// 000000004BD8: D3E10070 0DC2BD4E
	s_and_b32 s60, s72, 0xff                                   // 000000004BE0: 863CFF48 000000FF
	v_mov_b32_e32 v56, s60                                     // 000000004BE8: 7E70023C
	v_lshrrev_b32_e32 v31, 4, v0                               // 000000004BEC: 203E0084
	v_mul_i32_i24_e32 v31, 4, v31                              // 000000004BF0: 0C3E3E84
	s_mul_i32 s60, s7, 16                                      // 000000004BF4: 923C9007
	v_add_u32_e32 v31, s60, v31                                // 000000004BF8: 683E3E3C
	v_add_u32_e32 v32, 1, v31                                  // 000000004BFC: 68403E81
	v_add_u32_e32 v33, 2, v31                                  // 000000004C00: 68423E82
	v_add_u32_e32 v34, 3, v31                                  // 000000004C04: 68443E83
	v_and_b32_e32 v39, v55, v9                                 // 000000004C08: 264E1337
	v_cmp_lt_u32_e64 s[40:41], v31, v56                        // 000000004C0C: D0C90028 0002711F
	v_add_u32_e32 v31, 64, v31                                 // 000000004C14: 683E3EC0
	s_nop 0                                                    // 000000004C18: BF800000
	v_cndmask_b32_e64 v112, v39, v112, s[40:41]                // 000000004C1C: D1000070 00A2E127
	v_cmp_lt_u32_e64 s[40:41], v32, v56                        // 000000004C24: D0C90028 00027120
	v_add_u32_e32 v32, 64, v32                                 // 000000004C2C: 684040C0
	s_nop 0                                                    // 000000004C30: BF800000
	v_cndmask_b32_e64 v113, v39, v113, s[40:41]                // 000000004C34: D1000071 00A2E327
	v_cmp_lt_u32_e64 s[40:41], v33, v56                        // 000000004C3C: D0C90028 00027121
	v_add_u32_e32 v33, 64, v33                                 // 000000004C44: 684242C0
	s_nop 0                                                    // 000000004C48: BF800000
	v_cndmask_b32_e64 v114, v39, v114, s[40:41]                // 000000004C4C: D1000072 00A2E527
	v_cmp_lt_u32_e64 s[40:41], v34, v56                        // 000000004C54: D0C90028 00027122
	v_add_u32_e32 v34, 64, v34                                 // 000000004C5C: 684444C0
	s_nop 0                                                    // 000000004C60: BF800000
	v_cndmask_b32_e64 v115, v39, v115, s[40:41]                // 000000004C64: D1000073 00A2E727
	s_nop 1                                                    // 000000004C6C: BF800001
	v_or_b32_dpp v112, v114, v112 row_shr:8 row_mask:0xf bank_mask:0xf bound_ctrl:1// 000000004C70: 28E0E0FA FF091872
	v_or_b32_dpp v113, v115, v113 row_shr:8 row_mask:0xf bank_mask:0xf bound_ctrl:1// 000000004C78: 28E2E2FA FF091873
	v_max_f32_e32 v50, v112, v113                              // 000000004C80: 1664E370
	ds_write_b32 v11, v50                                      // 000000004C84: D81A0000 0000320B
	s_waitcnt lgkmcnt(0)                                       // 000000004C8C: BF8CC07F
	s_barrier                                                  // 000000004C90: BF8A0000
	ds_read_b32 v64, v10                                       // 000000004C94: D86C0000 4000000A
	ds_read_b32 v65, v10 offset:64                             // 000000004C9C: D86C0040 4100000A
	ds_read_b32 v66, v10 offset:128                            // 000000004CA4: D86C0080 4200000A
	ds_read_b32 v67, v10 offset:192                            // 000000004CAC: D86C00C0 4300000A
	ds_read_b32 v68, v10 offset:256                            // 000000004CB4: D86C0100 4400000A
	ds_read_b32 v69, v10 offset:320                            // 000000004CBC: D86C0140 4500000A
	ds_read_b32 v70, v10 offset:384                            // 000000004CC4: D86C0180 4600000A
	ds_read_b32 v71, v10 offset:448                            // 000000004CCC: D86C01C0 4700000A
	ds_read_b32 v72, v10 offset:512                            // 000000004CD4: D86C0200 4800000A
	ds_read_b32 v73, v10 offset:576                            // 000000004CDC: D86C0240 4900000A
	ds_read_b32 v74, v10 offset:640                            // 000000004CE4: D86C0280 4A00000A
	ds_read_b32 v75, v10 offset:704                            // 000000004CEC: D86C02C0 4B00000A
	ds_read_b32 v76, v10 offset:768                            // 000000004CF4: D86C0300 4C00000A
	ds_read_b32 v77, v10 offset:832                            // 000000004CFC: D86C0340 4D00000A
	ds_read_b32 v78, v10 offset:896                            // 000000004D04: D86C0380 4E00000A
	ds_read_b32 v79, v10 offset:960                            // 000000004D0C: D86C03C0 4F00000A
	s_waitcnt lgkmcnt(0)                                       // 000000004D14: BF8CC07F
	v_max3_f32 v50, v64, v65, v50                              // 000000004D18: D1D30032 04CA8340
	v_max3_f32 v50, v66, v67, v50                              // 000000004D20: D1D30032 04CA8742
	v_max3_f32 v50, v68, v69, v50                              // 000000004D28: D1D30032 04CA8B44
	v_max3_f32 v50, v70, v71, v50                              // 000000004D30: D1D30032 04CA8F46
	v_max3_f32 v50, v72, v73, v50                              // 000000004D38: D1D30032 04CA9348
	v_max3_f32 v50, v74, v75, v50                              // 000000004D40: D1D30032 04CA974A
	v_max3_f32 v50, v76, v77, v50                              // 000000004D48: D1D30032 04CA9B4C
	v_max3_f32 v50, v78, v79, v50                              // 000000004D50: D1D30032 04CA9F4E
	s_nop 1                                                    // 000000004D58: BF800001
	v_mov_b32_dpp v39, v50 row_ror:8 row_mask:0xf bank_mask:0xf// 000000004D5C: 7E4E02FA FF012832
	v_max_f32_e32 v50, v50, v39                                // 000000004D64: 16644F32
	v_max_f32_e32 v16, v50, v14                                // 000000004D68: 16201D32
	v_sub_f32_e32 v51, v14, v16                                // 000000004D6C: 0466210E
	v_mov_b32_e32 v14, v16                                     // 000000004D70: 7E1C0310
	v_mul_f32_e32 v53, s64, v16                                // 000000004D74: 0A6A2040
	v_mul_f32_e32 v51, s64, v51                                // 000000004D78: 0A666640
	v_exp_f32_e32 v51, v51                                     // 000000004D7C: 7E664133
	v_fma_f32 v112, v112, s64, -v53                            // 000000004D80: D1CB0070 84D48170
	v_fma_f32 v113, v113, s64, -v53                            // 000000004D88: D1CB0071 84D48171
	v_exp_f32_e32 v112, v112                                   // 000000004D90: 7EE04170
	v_exp_f32_e32 v113, v113                                   // 000000004D94: 7EE24171
	v_mul_f32_e32 v43, v51, v43                                // 000000004D98: 0A565733
	v_mov_b32_e32 v45, v112                                    // 000000004D9C: 7E5A0370
	v_add_f32_e32 v45, v113, v45                               // 000000004DA0: 025A5B71
	v_add_f32_e32 v43, v45, v43                                // 000000004DA4: 0256572D
	v_cmp_u_f32_e64 s[40:41], v112, v112                       // 000000004DA8: D0480028 0002E170
	v_add3_u32 v19, v112, v22, 1                               // 000000004DB0: D1FF0013 02062D70
	v_cndmask_b32_e64 v39, v19, v21, s[40:41]                  // 000000004DB8: D1000027 00A22B13
	v_cmp_u_f32_e64 s[40:41], v113, v113                       // 000000004DC0: D0480028 0002E371
	v_add3_u32 v19, v113, v22, 1                               // 000000004DC8: D1FF0013 02062D71
	v_cndmask_b32_e64 v40, v19, v21, s[40:41]                  // 000000004DD0: D1000028 00A22B13
	v_perm_b32 v112, v40, v39, s52                             // 000000004DD8: D1ED0070 00D24F28
	ds_write_b64 v13, v[112:113] offset:4096                   // 000000004DE0: D89A1000 0000700D
	s_waitcnt lgkmcnt(0)                                       // 000000004DE8: BF8CC07F
	s_barrier                                                  // 000000004DEC: BF8A0000
	ds_read_b64 v[112:113], v12 offset:4096                    // 000000004DF0: D8EC1000 7000000C
	ds_read_b64 v[114:115], v12 offset:4224                    // 000000004DF8: D8EC1080 7200000C
	ds_read_b64 v[116:117], v12 offset:5120                    // 000000004E00: D8EC1400 7400000C
	ds_read_b64 v[118:119], v12 offset:5248                    // 000000004E08: D8EC1480 7600000C
	s_waitcnt lgkmcnt(0)                                       // 000000004E10: BF8CC07F
	v_mov_b32_dpp v113, v112 row_shl:8 row_mask:0xf bank_mask:0xf bound_ctrl:1// 000000004E14: 7EE202FA FF090870
	v_and_b32_e32 v112, v112, v9                               // 000000004E1C: 26E01370
	v_mov_b32_dpp v115, v114 row_shl:8 row_mask:0xf bank_mask:0xf bound_ctrl:1// 000000004E20: 7EE602FA FF090872
	v_and_b32_e32 v114, v114, v9                               // 000000004E28: 26E41372
	v_mov_b32_dpp v117, v116 row_shl:8 row_mask:0xf bank_mask:0xf bound_ctrl:1// 000000004E2C: 7EEA02FA FF090874
	v_and_b32_e32 v116, v116, v9                               // 000000004E34: 26E81374
	v_mov_b32_dpp v119, v118 row_shl:8 row_mask:0xf bank_mask:0xf bound_ctrl:1// 000000004E38: 7EEE02FA FF090876
	v_and_b32_e32 v118, v118, v9                               // 000000004E40: 26EC1376
	v_mul_f32_e32 v176, v51, v176                              // 000000004E44: 0B616133
	v_mul_f32_e32 v177, v51, v177                              // 000000004E48: 0B636333
	v_mul_f32_e32 v178, v51, v178                              // 000000004E4C: 0B656533
	v_mul_f32_e32 v179, v51, v179                              // 000000004E50: 0B676733
	v_mul_f32_e32 v180, v51, v180                              // 000000004E54: 0B696933
	v_mul_f32_e32 v181, v51, v181                              // 000000004E58: 0B6B6B33
	v_mul_f32_e32 v182, v51, v182                              // 000000004E5C: 0B6D6D33
	v_mul_f32_e32 v183, v51, v183                              // 000000004E60: 0B6F6F33
	s_waitcnt vmcnt(0)                                         // 000000004E64: BF8C0F70
	v_mfma_f32_16x16x16_bf16 v[176:179], a[192:193], v[112:113], v[176:179]// 000000004E68: D3E100B0 0EC2E1C0
	v_mfma_f32_16x16x16_bf16 v[176:179], a[194:195], v[114:115], v[176:179]// 000000004E70: D3E100B0 0EC2E5C2
	v_mfma_f32_16x16x16_bf16 v[176:179], a[196:197], v[116:117], v[176:179]// 000000004E78: D3E100B0 0EC2E9C4
	v_mfma_f32_16x16x16_bf16 v[176:179], a[198:199], v[118:119], v[176:179]// 000000004E80: D3E100B0 0EC2EDC6
	v_mfma_f32_16x16x16_bf16 v[180:183], a[224:225], v[112:113], v[180:183]// 000000004E88: D3E100B4 0ED2E1E0
	v_mfma_f32_16x16x16_bf16 v[180:183], a[226:227], v[114:115], v[180:183]// 000000004E90: D3E100B4 0ED2E5E2
	v_mfma_f32_16x16x16_bf16 v[180:183], a[228:229], v[116:117], v[180:183]// 000000004E98: D3E100B4 0ED2E9E4
	v_mfma_f32_16x16x16_bf16 v[180:183], a[230:231], v[118:119], v[180:183]// 000000004EA0: D3E100B4 0ED2EDE6
	s_nop 8                                                    // 000000004EA8: BF800008
	s_branch label_0F21                                        // 000000004EAC: BF8203F4

0000000000004eb0 <label_0B2D>:
	s_lshr_b32 s60, s71, 8                                     // 000000004EB0: 8F3C8847
	s_and_b32 s60, s60, 1                                      // 000000004EB4: 863C813C
	s_cmp_eq_i32 s60, 1                                        // 000000004EB8: BF00813C
	s_cbranch_scc1 label_0D29                                  // 000000004EBC: BF8501F8
	s_waitcnt vmcnt(16) lgkmcnt(0)                             // 000000004EC0: BF8C4070
	s_barrier                                                  // 000000004EC4: BF8A0000
	v_mfma_f32_16x16x16_bf16 v[112:115], a[0:1], v[80:81], 0   // 000000004EC8: D3E10070 0A02A100
	v_mfma_f32_16x16x16_bf16 v[112:115], a[2:3], v[82:83], v[112:115]// 000000004ED0: D3E10070 0DC2A502
	v_mfma_f32_16x16x16_bf16 v[112:115], a[4:5], v[84:85], v[112:115]// 000000004ED8: D3E10070 0DC2A904
	v_mfma_f32_16x16x16_bf16 v[112:115], a[6:7], v[86:87], v[112:115]// 000000004EE0: D3E10070 0DC2AD06
	v_mfma_f32_16x16x16_bf16 v[112:115], a[8:9], v[88:89], v[112:115]// 000000004EE8: D3E10070 0DC2B108
	v_mfma_f32_16x16x16_bf16 v[112:115], a[10:11], v[90:91], v[112:115]// 000000004EF0: D3E10070 0DC2B50A
	v_mfma_f32_16x16x16_bf16 v[112:115], a[12:13], v[92:93], v[112:115]// 000000004EF8: D3E10070 0DC2B90C
	v_mfma_f32_16x16x16_bf16 v[112:115], a[14:15], v[94:95], v[112:115]// 000000004F00: D3E10070 0DC2BD0E
	v_mfma_f32_16x16x16_bf16 v[116:119], a[16:17], v[80:81], 0 // 000000004F08: D3E10074 0A02A110
	v_mfma_f32_16x16x16_bf16 v[116:119], a[18:19], v[82:83], v[116:119]// 000000004F10: D3E10074 0DD2A512
	v_mfma_f32_16x16x16_bf16 v[116:119], a[20:21], v[84:85], v[116:119]// 000000004F18: D3E10074 0DD2A914
	v_mfma_f32_16x16x16_bf16 v[116:119], a[22:23], v[86:87], v[116:119]// 000000004F20: D3E10074 0DD2AD16
	v_mfma_f32_16x16x16_bf16 v[116:119], a[24:25], v[88:89], v[116:119]// 000000004F28: D3E10074 0DD2B118
	v_mfma_f32_16x16x16_bf16 v[116:119], a[26:27], v[90:91], v[116:119]// 000000004F30: D3E10074 0DD2B51A
	v_mfma_f32_16x16x16_bf16 v[116:119], a[28:29], v[92:93], v[116:119]// 000000004F38: D3E10074 0DD2B91C
	v_mfma_f32_16x16x16_bf16 v[116:119], a[30:31], v[94:95], v[116:119]// 000000004F40: D3E10074 0DD2BD1E
	v_mfma_f32_16x16x16_bf16 v[120:123], a[32:33], v[80:81], 0 // 000000004F48: D3E10078 0A02A120
	v_mfma_f32_16x16x16_bf16 v[120:123], a[34:35], v[82:83], v[120:123]// 000000004F50: D3E10078 0DE2A522
	v_mfma_f32_16x16x16_bf16 v[120:123], a[36:37], v[84:85], v[120:123]// 000000004F58: D3E10078 0DE2A924
	v_mfma_f32_16x16x16_bf16 v[120:123], a[38:39], v[86:87], v[120:123]// 000000004F60: D3E10078 0DE2AD26
	v_mfma_f32_16x16x16_bf16 v[120:123], a[40:41], v[88:89], v[120:123]// 000000004F68: D3E10078 0DE2B128
	v_mfma_f32_16x16x16_bf16 v[120:123], a[42:43], v[90:91], v[120:123]// 000000004F70: D3E10078 0DE2B52A
	v_mfma_f32_16x16x16_bf16 v[120:123], a[44:45], v[92:93], v[120:123]// 000000004F78: D3E10078 0DE2B92C
	v_mfma_f32_16x16x16_bf16 v[120:123], a[46:47], v[94:95], v[120:123]// 000000004F80: D3E10078 0DE2BD2E
	v_mfma_f32_16x16x16_bf16 v[124:127], a[48:49], v[80:81], 0 // 000000004F88: D3E1007C 0A02A130
	v_mfma_f32_16x16x16_bf16 v[124:127], a[50:51], v[82:83], v[124:127]// 000000004F90: D3E1007C 0DF2A532
	v_mfma_f32_16x16x16_bf16 v[124:127], a[52:53], v[84:85], v[124:127]// 000000004F98: D3E1007C 0DF2A934
	v_mfma_f32_16x16x16_bf16 v[124:127], a[54:55], v[86:87], v[124:127]// 000000004FA0: D3E1007C 0DF2AD36
	v_mfma_f32_16x16x16_bf16 v[124:127], a[56:57], v[88:89], v[124:127]// 000000004FA8: D3E1007C 0DF2B138
	v_mfma_f32_16x16x16_bf16 v[124:127], a[58:59], v[90:91], v[124:127]// 000000004FB0: D3E1007C 0DF2B53A
	v_mfma_f32_16x16x16_bf16 v[124:127], a[60:61], v[92:93], v[124:127]// 000000004FB8: D3E1007C 0DF2B93C
	v_mfma_f32_16x16x16_bf16 v[124:127], a[62:63], v[94:95], v[124:127]// 000000004FC0: D3E1007C 0DF2BD3E
	s_nop 8                                                    // 000000004FC8: BF800008
	s_and_b32 s60, s72, 0xff                                   // 000000004FCC: 863CFF48 000000FF
	v_mov_b32_e32 v56, s60                                     // 000000004FD4: 7E70023C
	v_lshrrev_b32_e32 v31, 4, v0                               // 000000004FD8: 203E0084
	v_mul_i32_i24_e32 v31, 4, v31                              // 000000004FDC: 0C3E3E84
	s_mul_i32 s60, s7, 16                                      // 000000004FE0: 923C9007
	v_add_u32_e32 v31, s60, v31                                // 000000004FE4: 683E3E3C
	v_add_u32_e32 v32, 1, v31                                  // 000000004FE8: 68403E81
	v_add_u32_e32 v33, 2, v31                                  // 000000004FEC: 68423E82
	v_add_u32_e32 v34, 3, v31                                  // 000000004FF0: 68443E83
	v_and_b32_e32 v39, v55, v9                                 // 000000004FF4: 264E1337
	v_cmp_lt_u32_e64 s[40:41], v31, v56                        // 000000004FF8: D0C90028 0002711F
	v_add_u32_e32 v31, 64, v31                                 // 000000005000: 683E3EC0
	s_nop 0                                                    // 000000005004: BF800000
	v_cndmask_b32_e64 v112, v39, v112, s[40:41]                // 000000005008: D1000070 00A2E127
	v_cmp_lt_u32_e64 s[40:41], v32, v56                        // 000000005010: D0C90028 00027120
	v_add_u32_e32 v32, 64, v32                                 // 000000005018: 684040C0
	s_nop 0                                                    // 00000000501C: BF800000
	v_cndmask_b32_e64 v113, v39, v113, s[40:41]                // 000000005020: D1000071 00A2E327
	v_cmp_lt_u32_e64 s[40:41], v33, v56                        // 000000005028: D0C90028 00027121
	v_add_u32_e32 v33, 64, v33                                 // 000000005030: 684242C0
	s_nop 0                                                    // 000000005034: BF800000
	v_cndmask_b32_e64 v114, v39, v114, s[40:41]                // 000000005038: D1000072 00A2E527
	v_cmp_lt_u32_e64 s[40:41], v34, v56                        // 000000005040: D0C90028 00027122
	v_add_u32_e32 v34, 64, v34                                 // 000000005048: 684444C0
	s_nop 0                                                    // 00000000504C: BF800000
	v_cndmask_b32_e64 v115, v39, v115, s[40:41]                // 000000005050: D1000073 00A2E727
	v_cmp_lt_u32_e64 s[40:41], v31, v56                        // 000000005058: D0C90028 0002711F
	v_add_u32_e32 v31, 64, v31                                 // 000000005060: 683E3EC0
	s_nop 0                                                    // 000000005064: BF800000
	v_cndmask_b32_e64 v116, v39, v116, s[40:41]                // 000000005068: D1000074 00A2E927
	v_cmp_lt_u32_e64 s[40:41], v32, v56                        // 000000005070: D0C90028 00027120
	v_add_u32_e32 v32, 64, v32                                 // 000000005078: 684040C0
	s_nop 0                                                    // 00000000507C: BF800000
	v_cndmask_b32_e64 v117, v39, v117, s[40:41]                // 000000005080: D1000075 00A2EB27
	v_cmp_lt_u32_e64 s[40:41], v33, v56                        // 000000005088: D0C90028 00027121
	v_add_u32_e32 v33, 64, v33                                 // 000000005090: 684242C0
	s_nop 0                                                    // 000000005094: BF800000
	v_cndmask_b32_e64 v118, v39, v118, s[40:41]                // 000000005098: D1000076 00A2ED27
	v_cmp_lt_u32_e64 s[40:41], v34, v56                        // 0000000050A0: D0C90028 00027122
	v_add_u32_e32 v34, 64, v34                                 // 0000000050A8: 684444C0
	s_nop 0                                                    // 0000000050AC: BF800000
	v_cndmask_b32_e64 v119, v39, v119, s[40:41]                // 0000000050B0: D1000077 00A2EF27
	v_cmp_lt_u32_e64 s[40:41], v31, v56                        // 0000000050B8: D0C90028 0002711F
	v_add_u32_e32 v31, 64, v31                                 // 0000000050C0: 683E3EC0
	s_nop 0                                                    // 0000000050C4: BF800000
	v_cndmask_b32_e64 v120, v39, v120, s[40:41]                // 0000000050C8: D1000078 00A2F127
	v_cmp_lt_u32_e64 s[40:41], v32, v56                        // 0000000050D0: D0C90028 00027120
	v_add_u32_e32 v32, 64, v32                                 // 0000000050D8: 684040C0
	s_nop 0                                                    // 0000000050DC: BF800000
	v_cndmask_b32_e64 v121, v39, v121, s[40:41]                // 0000000050E0: D1000079 00A2F327
	v_cmp_lt_u32_e64 s[40:41], v33, v56                        // 0000000050E8: D0C90028 00027121
	v_add_u32_e32 v33, 64, v33                                 // 0000000050F0: 684242C0
	s_nop 0                                                    // 0000000050F4: BF800000
	v_cndmask_b32_e64 v122, v39, v122, s[40:41]                // 0000000050F8: D100007A 00A2F527
	v_cmp_lt_u32_e64 s[40:41], v34, v56                        // 000000005100: D0C90028 00027122
	v_add_u32_e32 v34, 64, v34                                 // 000000005108: 684444C0
	s_nop 0                                                    // 00000000510C: BF800000
	v_cndmask_b32_e64 v123, v39, v123, s[40:41]                // 000000005110: D100007B 00A2F727
	v_cmp_lt_u32_e64 s[40:41], v31, v56                        // 000000005118: D0C90028 0002711F
	v_add_u32_e32 v31, 64, v31                                 // 000000005120: 683E3EC0
	s_nop 0                                                    // 000000005124: BF800000
	v_cndmask_b32_e64 v124, v39, v124, s[40:41]                // 000000005128: D100007C 00A2F927
	v_cmp_lt_u32_e64 s[40:41], v32, v56                        // 000000005130: D0C90028 00027120
	v_add_u32_e32 v32, 64, v32                                 // 000000005138: 684040C0
	s_nop 0                                                    // 00000000513C: BF800000
	v_cndmask_b32_e64 v125, v39, v125, s[40:41]                // 000000005140: D100007D 00A2FB27
	v_cmp_lt_u32_e64 s[40:41], v33, v56                        // 000000005148: D0C90028 00027121
	v_add_u32_e32 v33, 64, v33                                 // 000000005150: 684242C0
	s_nop 0                                                    // 000000005154: BF800000
	v_cndmask_b32_e64 v126, v39, v126, s[40:41]                // 000000005158: D100007E 00A2FD27
	v_cmp_lt_u32_e64 s[40:41], v34, v56                        // 000000005160: D0C90028 00027122
	v_add_u32_e32 v34, 64, v34                                 // 000000005168: 684444C0
	s_nop 0                                                    // 00000000516C: BF800000
	v_cndmask_b32_e64 v127, v39, v127, s[40:41]                // 000000005170: D100007F 00A2FF27
	s_nop 8                                                    // 000000005178: BF800008
	v_or_b32_dpp v112, v120, v112 row_shr:8 row_mask:0xf bank_mask:0xf bound_ctrl:1// 00000000517C: 28E0E0FA FF091878
	v_or_b32_dpp v113, v121, v113 row_shr:8 row_mask:0xf bank_mask:0xf bound_ctrl:1// 000000005184: 28E2E2FA FF091879
	v_or_b32_dpp v114, v122, v114 row_shr:8 row_mask:0xf bank_mask:0xf bound_ctrl:1// 00000000518C: 28E4E4FA FF09187A
	v_or_b32_dpp v115, v123, v115 row_shr:8 row_mask:0xf bank_mask:0xf bound_ctrl:1// 000000005194: 28E6E6FA FF09187B
	v_or_b32_dpp v116, v124, v116 row_shr:8 row_mask:0xf bank_mask:0xf bound_ctrl:1// 00000000519C: 28E8E8FA FF09187C
	v_or_b32_dpp v117, v125, v117 row_shr:8 row_mask:0xf bank_mask:0xf bound_ctrl:1// 0000000051A4: 28EAEAFA FF09187D
	v_or_b32_dpp v118, v126, v118 row_shr:8 row_mask:0xf bank_mask:0xf bound_ctrl:1// 0000000051AC: 28ECECFA FF09187E
	v_or_b32_dpp v119, v127, v119 row_shr:8 row_mask:0xf bank_mask:0xf bound_ctrl:1// 0000000051B4: 28EEEEFA FF09187F
	v_mov_b32_e32 v50, v112                                    // 0000000051BC: 7E640370
	v_max3_f32 v50, v112, v113, v50                            // 0000000051C0: D1D30032 04CAE370
	v_max3_f32 v50, v114, v115, v50                            // 0000000051C8: D1D30032 04CAE772
	v_max3_f32 v50, v116, v117, v50                            // 0000000051D0: D1D30032 04CAEB74
	v_max3_f32 v50, v118, v119, v50                            // 0000000051D8: D1D30032 04CAEF76
	ds_write_b32 v11, v50                                      // 0000000051E0: D81A0000 0000320B
	s_waitcnt lgkmcnt(0)                                       // 0000000051E8: BF8CC07F
	s_barrier                                                  // 0000000051EC: BF8A0000
	ds_read_b32 v64, v10                                       // 0000000051F0: D86C0000 4000000A
	ds_read_b32 v65, v10 offset:64                             // 0000000051F8: D86C0040 4100000A
	ds_read_b32 v66, v10 offset:128                            // 000000005200: D86C0080 4200000A
	ds_read_b32 v67, v10 offset:192                            // 000000005208: D86C00C0 4300000A
	ds_read_b32 v68, v10 offset:256                            // 000000005210: D86C0100 4400000A
	ds_read_b32 v69, v10 offset:320                            // 000000005218: D86C0140 4500000A
	ds_read_b32 v70, v10 offset:384                            // 000000005220: D86C0180 4600000A
	ds_read_b32 v71, v10 offset:448                            // 000000005228: D86C01C0 4700000A
	ds_read_b32 v72, v10 offset:512                            // 000000005230: D86C0200 4800000A
	ds_read_b32 v73, v10 offset:576                            // 000000005238: D86C0240 4900000A
	ds_read_b32 v74, v10 offset:640                            // 000000005240: D86C0280 4A00000A
	ds_read_b32 v75, v10 offset:704                            // 000000005248: D86C02C0 4B00000A
	ds_read_b32 v76, v10 offset:768                            // 000000005250: D86C0300 4C00000A
	ds_read_b32 v77, v10 offset:832                            // 000000005258: D86C0340 4D00000A
	ds_read_b32 v78, v10 offset:896                            // 000000005260: D86C0380 4E00000A
	ds_read_b32 v79, v10 offset:960                            // 000000005268: D86C03C0 4F00000A
	s_waitcnt lgkmcnt(0)                                       // 000000005270: BF8CC07F
	v_max3_f32 v50, v64, v65, v50                              // 000000005274: D1D30032 04CA8340
	v_max3_f32 v50, v66, v67, v50                              // 00000000527C: D1D30032 04CA8742
	v_max3_f32 v50, v68, v69, v50                              // 000000005284: D1D30032 04CA8B44
	v_max3_f32 v50, v70, v71, v50                              // 00000000528C: D1D30032 04CA8F46
	v_max3_f32 v50, v72, v73, v50                              // 000000005294: D1D30032 04CA9348
	v_max3_f32 v50, v74, v75, v50                              // 00000000529C: D1D30032 04CA974A
	v_max3_f32 v50, v76, v77, v50                              // 0000000052A4: D1D30032 04CA9B4C
	v_max3_f32 v50, v78, v79, v50                              // 0000000052AC: D1D30032 04CA9F4E
	v_cmp_eq_u32_e64 s[40:41], v55, v14                        // 0000000052B4: D0CA0028 00021D37
	s_nop 1                                                    // 0000000052BC: BF800001
	v_mov_b32_dpp v39, v50 row_ror:8 row_mask:0xf bank_mask:0xf// 0000000052C0: 7E4E02FA FF012832
	v_max_f32_e32 v50, v50, v39                                // 0000000052C8: 16644F32
	v_max_f32_e32 v16, v50, v14                                // 0000000052CC: 16201D32
	v_sub_f32_e32 v51, v14, v16                                // 0000000052D0: 0466210E
	v_cndmask_b32_e64 v51, v51, 0, s[40:41]                    // 0000000052D4: D1000033 00A10133
	v_mov_b32_e32 v14, v16                                     // 0000000052DC: 7E1C0310
	v_mul_f32_e32 v53, s64, v16                                // 0000000052E0: 0A6A2040
	v_mul_f32_e32 v51, s64, v51                                // 0000000052E4: 0A666640
	v_exp_f32_e32 v51, v51                                     // 0000000052E8: 7E664133
	v_fma_f32 v112, v112, s64, -v53                            // 0000000052EC: D1CB0070 84D48170
	v_fma_f32 v113, v113, s64, -v53                            // 0000000052F4: D1CB0071 84D48171
	v_fma_f32 v114, v114, s64, -v53                            // 0000000052FC: D1CB0072 84D48172
	v_fma_f32 v115, v115, s64, -v53                            // 000000005304: D1CB0073 84D48173
	v_fma_f32 v116, v116, s64, -v53                            // 00000000530C: D1CB0074 84D48174
	v_fma_f32 v117, v117, s64, -v53                            // 000000005314: D1CB0075 84D48175
	v_fma_f32 v118, v118, s64, -v53                            // 00000000531C: D1CB0076 84D48176
	v_fma_f32 v119, v119, s64, -v53                            // 000000005324: D1CB0077 84D48177
	v_exp_f32_e32 v112, v112                                   // 00000000532C: 7EE04170
	v_exp_f32_e32 v113, v113                                   // 000000005330: 7EE24171
	v_exp_f32_e32 v114, v114                                   // 000000005334: 7EE44172
	v_exp_f32_e32 v115, v115                                   // 000000005338: 7EE64173
	v_exp_f32_e32 v116, v116                                   // 00000000533C: 7EE84174
	v_exp_f32_e32 v117, v117                                   // 000000005340: 7EEA4175
	v_exp_f32_e32 v118, v118                                   // 000000005344: 7EEC4176
	v_exp_f32_e32 v119, v119                                   // 000000005348: 7EEE4177
	v_mul_f32_e32 v43, v51, v43                                // 00000000534C: 0A565733
	v_mov_b32_e32 v45, v112                                    // 000000005350: 7E5A0370
	v_add_f32_e32 v45, v113, v45                               // 000000005354: 025A5B71
	v_add_f32_e32 v45, v114, v45                               // 000000005358: 025A5B72
	v_add_f32_e32 v45, v115, v45                               // 00000000535C: 025A5B73
	v_add_f32_e32 v45, v116, v45                               // 000000005360: 025A5B74
	v_add_f32_e32 v45, v117, v45                               // 000000005364: 025A5B75
	v_add_f32_e32 v45, v118, v45                               // 000000005368: 025A5B76
	v_add_f32_e32 v45, v119, v45                               // 00000000536C: 025A5B77
	v_add_f32_e32 v43, v45, v43                                // 000000005370: 0256572D
	v_cmp_u_f32_e64 s[40:41], v112, v112                       // 000000005374: D0480028 0002E170
	v_add3_u32 v19, v112, v22, 1                               // 00000000537C: D1FF0013 02062D70
	v_cndmask_b32_e64 v39, v19, v21, s[40:41]                  // 000000005384: D1000027 00A22B13
	v_cmp_u_f32_e64 s[40:41], v113, v113                       // 00000000538C: D0480028 0002E371
	v_add3_u32 v19, v113, v22, 1                               // 000000005394: D1FF0013 02062D71
	v_cndmask_b32_e64 v40, v19, v21, s[40:41]                  // 00000000539C: D1000028 00A22B13
	v_perm_b32 v112, v40, v39, s52                             // 0000000053A4: D1ED0070 00D24F28
	v_cmp_u_f32_e64 s[40:41], v114, v114                       // 0000000053AC: D0480028 0002E572
	v_add3_u32 v19, v114, v22, 1                               // 0000000053B4: D1FF0013 02062D72
	v_cndmask_b32_e64 v39, v19, v21, s[40:41]                  // 0000000053BC: D1000027 00A22B13
	v_cmp_u_f32_e64 s[40:41], v115, v115                       // 0000000053C4: D0480028 0002E773
	v_add3_u32 v19, v115, v22, 1                               // 0000000053CC: D1FF0013 02062D73
	v_cndmask_b32_e64 v40, v19, v21, s[40:41]                  // 0000000053D4: D1000028 00A22B13
	v_perm_b32 v113, v40, v39, s52                             // 0000000053DC: D1ED0071 00D24F28
	v_cmp_u_f32_e64 s[40:41], v116, v116                       // 0000000053E4: D0480028 0002E974
	v_add3_u32 v19, v116, v22, 1                               // 0000000053EC: D1FF0013 02062D74
	v_cndmask_b32_e64 v39, v19, v21, s[40:41]                  // 0000000053F4: D1000027 00A22B13
	v_cmp_u_f32_e64 s[40:41], v117, v117                       // 0000000053FC: D0480028 0002EB75
	v_add3_u32 v19, v117, v22, 1                               // 000000005404: D1FF0013 02062D75
	v_cndmask_b32_e64 v40, v19, v21, s[40:41]                  // 00000000540C: D1000028 00A22B13
	v_perm_b32 v114, v40, v39, s52                             // 000000005414: D1ED0072 00D24F28
	v_cmp_u_f32_e64 s[40:41], v118, v118                       // 00000000541C: D0480028 0002ED76
	v_add3_u32 v19, v118, v22, 1                               // 000000005424: D1FF0013 02062D76
	v_cndmask_b32_e64 v39, v19, v21, s[40:41]                  // 00000000542C: D1000027 00A22B13
	v_cmp_u_f32_e64 s[40:41], v119, v119                       // 000000005434: D0480028 0002EF77
	v_add3_u32 v19, v119, v22, 1                               // 00000000543C: D1FF0013 02062D77
	v_cndmask_b32_e64 v40, v19, v21, s[40:41]                  // 000000005444: D1000028 00A22B13
	v_perm_b32 v115, v40, v39, s52                             // 00000000544C: D1ED0073 00D24F28
	ds_write_b64 v13, v[112:113] offset:4096                   // 000000005454: D89A1000 0000700D
	ds_write_b64 v13, v[114:115] offset:6144                   // 00000000545C: D89A1800 0000720D
	s_waitcnt lgkmcnt(0)                                       // 000000005464: BF8CC07F
	s_barrier                                                  // 000000005468: BF8A0000
	ds_read_b64 v[112:113], v12 offset:4096                    // 00000000546C: D8EC1000 7000000C
	ds_read_b64 v[114:115], v12 offset:4224                    // 000000005474: D8EC1080 7200000C
	ds_read_b64 v[116:117], v12 offset:5120                    // 00000000547C: D8EC1400 7400000C
	ds_read_b64 v[118:119], v12 offset:5248                    // 000000005484: D8EC1480 7600000C
	ds_read_b64 v[120:121], v12 offset:6144                    // 00000000548C: D8EC1800 7800000C
	ds_read_b64 v[122:123], v12 offset:6272                    // 000000005494: D8EC1880 7A00000C
	ds_read_b64 v[124:125], v12 offset:7168                    // 00000000549C: D8EC1C00 7C00000C
	ds_read_b64 v[126:127], v12 offset:7296                    // 0000000054A4: D8EC1C80 7E00000C
	s_waitcnt lgkmcnt(0)                                       // 0000000054AC: BF8CC07F
	v_mov_b32_dpp v128, v112 row_shl:8 row_mask:0xf bank_mask:0xf bound_ctrl:1// 0000000054B0: 7F0002FA FF090870
	v_and_b32_e32 v112, v112, v9                               // 0000000054B8: 26E01370
	v_mov_b32_dpp v129, v113 row_shl:8 row_mask:0xf bank_mask:0xf bound_ctrl:1// 0000000054BC: 7F0202FA FF090871
	v_and_b32_e32 v113, v113, v9                               // 0000000054C4: 26E21371
	v_mov_b32_dpp v130, v114 row_shl:8 row_mask:0xf bank_mask:0xf bound_ctrl:1// 0000000054C8: 7F0402FA FF090872
	v_and_b32_e32 v114, v114, v9                               // 0000000054D0: 26E41372
	v_mov_b32_dpp v131, v115 row_shl:8 row_mask:0xf bank_mask:0xf bound_ctrl:1// 0000000054D4: 7F0602FA FF090873
	v_and_b32_e32 v115, v115, v9                               // 0000000054DC: 26E61373
	v_mov_b32_dpp v132, v116 row_shl:8 row_mask:0xf bank_mask:0xf bound_ctrl:1// 0000000054E0: 7F0802FA FF090874
	v_and_b32_e32 v116, v116, v9                               // 0000000054E8: 26E81374
	v_mov_b32_dpp v133, v117 row_shl:8 row_mask:0xf bank_mask:0xf bound_ctrl:1// 0000000054EC: 7F0A02FA FF090875
	v_and_b32_e32 v117, v117, v9                               // 0000000054F4: 26EA1375
	v_mov_b32_dpp v134, v118 row_shl:8 row_mask:0xf bank_mask:0xf bound_ctrl:1// 0000000054F8: 7F0C02FA FF090876
	v_and_b32_e32 v118, v118, v9                               // 000000005500: 26EC1376
	v_mov_b32_dpp v135, v119 row_shl:8 row_mask:0xf bank_mask:0xf bound_ctrl:1// 000000005504: 7F0E02FA FF090877
	v_and_b32_e32 v119, v119, v9                               // 00000000550C: 26EE1377
	v_mov_b32_dpp v136, v120 row_shl:8 row_mask:0xf bank_mask:0xf bound_ctrl:1// 000000005510: 7F1002FA FF090878
	v_and_b32_e32 v120, v120, v9                               // 000000005518: 26F01378
	v_mov_b32_dpp v137, v121 row_shl:8 row_mask:0xf bank_mask:0xf bound_ctrl:1// 00000000551C: 7F1202FA FF090879
	v_and_b32_e32 v121, v121, v9                               // 000000005524: 26F21379
	v_mov_b32_dpp v138, v122 row_shl:8 row_mask:0xf bank_mask:0xf bound_ctrl:1// 000000005528: 7F1402FA FF09087A
	v_and_b32_e32 v122, v122, v9                               // 000000005530: 26F4137A
	v_mov_b32_dpp v139, v123 row_shl:8 row_mask:0xf bank_mask:0xf bound_ctrl:1// 000000005534: 7F1602FA FF09087B
	v_and_b32_e32 v123, v123, v9                               // 00000000553C: 26F6137B
	v_mov_b32_dpp v140, v124 row_shl:8 row_mask:0xf bank_mask:0xf bound_ctrl:1// 000000005540: 7F1802FA FF09087C
	v_and_b32_e32 v124, v124, v9                               // 000000005548: 26F8137C
	v_mov_b32_dpp v141, v125 row_shl:8 row_mask:0xf bank_mask:0xf bound_ctrl:1// 00000000554C: 7F1A02FA FF09087D
	v_and_b32_e32 v125, v125, v9                               // 000000005554: 26FA137D
	v_mov_b32_dpp v142, v126 row_shl:8 row_mask:0xf bank_mask:0xf bound_ctrl:1// 000000005558: 7F1C02FA FF09087E
	v_and_b32_e32 v126, v126, v9                               // 000000005560: 26FC137E
	v_mov_b32_dpp v143, v127 row_shl:8 row_mask:0xf bank_mask:0xf bound_ctrl:1// 000000005564: 7F1E02FA FF09087F
	v_and_b32_e32 v127, v127, v9                               // 00000000556C: 26FE137F
	v_mul_f32_e32 v176, v51, v176                              // 000000005570: 0B616133
	v_mul_f32_e32 v177, v51, v177                              // 000000005574: 0B636333
	v_mul_f32_e32 v178, v51, v178                              // 000000005578: 0B656533
	v_mul_f32_e32 v179, v51, v179                              // 00000000557C: 0B676733
	v_mul_f32_e32 v180, v51, v180                              // 000000005580: 0B696933
	v_mul_f32_e32 v181, v51, v181                              // 000000005584: 0B6B6B33
	v_mul_f32_e32 v182, v51, v182                              // 000000005588: 0B6D6D33
	v_mul_f32_e32 v183, v51, v183                              // 00000000558C: 0B6F6F33
	s_waitcnt vmcnt(0)                                         // 000000005590: BF8C0F70
	s_barrier                                                  // 000000005594: BF8A0000
	v_mfma_f32_16x16x16_bf16 v[176:179], a[128:129], v[112:113], v[176:179]// 000000005598: D3E100B0 0EC2E180
	v_mfma_f32_16x16x16_bf16 v[176:179], a[130:131], v[114:115], v[176:179]// 0000000055A0: D3E100B0 0EC2E582
	v_mfma_f32_16x16x16_bf16 v[176:179], a[132:133], v[116:117], v[176:179]// 0000000055A8: D3E100B0 0EC2E984
	v_mfma_f32_16x16x16_bf16 v[176:179], a[134:135], v[118:119], v[176:179]// 0000000055B0: D3E100B0 0EC2ED86
	v_mfma_f32_16x16x16_bf16 v[176:179], a[136:137], v[120:121], v[176:179]// 0000000055B8: D3E100B0 0EC2F188
	v_mfma_f32_16x16x16_bf16 v[176:179], a[138:139], v[122:123], v[176:179]// 0000000055C0: D3E100B0 0EC2F58A
	v_mfma_f32_16x16x16_bf16 v[176:179], a[140:141], v[124:125], v[176:179]// 0000000055C8: D3E100B0 0EC2F98C
	v_mfma_f32_16x16x16_bf16 v[176:179], a[142:143], v[126:127], v[176:179]// 0000000055D0: D3E100B0 0EC2FD8E
	v_mfma_f32_16x16x16_bf16 v[176:179], a[144:145], v[128:129], v[176:179]// 0000000055D8: D3E100B0 0EC30190
	v_mfma_f32_16x16x16_bf16 v[176:179], a[146:147], v[130:131], v[176:179]// 0000000055E0: D3E100B0 0EC30592
	v_mfma_f32_16x16x16_bf16 v[176:179], a[148:149], v[132:133], v[176:179]// 0000000055E8: D3E100B0 0EC30994
	v_mfma_f32_16x16x16_bf16 v[176:179], a[150:151], v[134:135], v[176:179]// 0000000055F0: D3E100B0 0EC30D96
	v_mfma_f32_16x16x16_bf16 v[176:179], a[152:153], v[136:137], v[176:179]// 0000000055F8: D3E100B0 0EC31198
	v_mfma_f32_16x16x16_bf16 v[176:179], a[154:155], v[138:139], v[176:179]// 000000005600: D3E100B0 0EC3159A
	v_mfma_f32_16x16x16_bf16 v[176:179], a[156:157], v[140:141], v[176:179]// 000000005608: D3E100B0 0EC3199C
	v_mfma_f32_16x16x16_bf16 v[176:179], a[158:159], v[142:143], v[176:179]// 000000005610: D3E100B0 0EC31D9E
	v_mfma_f32_16x16x16_bf16 v[180:183], a[160:161], v[112:113], v[180:183]// 000000005618: D3E100B4 0ED2E1A0
	v_mfma_f32_16x16x16_bf16 v[180:183], a[162:163], v[114:115], v[180:183]// 000000005620: D3E100B4 0ED2E5A2
	v_mfma_f32_16x16x16_bf16 v[180:183], a[164:165], v[116:117], v[180:183]// 000000005628: D3E100B4 0ED2E9A4
	v_mfma_f32_16x16x16_bf16 v[180:183], a[166:167], v[118:119], v[180:183]// 000000005630: D3E100B4 0ED2EDA6
	v_mfma_f32_16x16x16_bf16 v[180:183], a[168:169], v[120:121], v[180:183]// 000000005638: D3E100B4 0ED2F1A8
	v_mfma_f32_16x16x16_bf16 v[180:183], a[170:171], v[122:123], v[180:183]// 000000005640: D3E100B4 0ED2F5AA
	v_mfma_f32_16x16x16_bf16 v[180:183], a[172:173], v[124:125], v[180:183]// 000000005648: D3E100B4 0ED2F9AC
	v_mfma_f32_16x16x16_bf16 v[180:183], a[174:175], v[126:127], v[180:183]// 000000005650: D3E100B4 0ED2FDAE
	v_mfma_f32_16x16x16_bf16 v[180:183], a[176:177], v[128:129], v[180:183]// 000000005658: D3E100B4 0ED301B0
	v_mfma_f32_16x16x16_bf16 v[180:183], a[178:179], v[130:131], v[180:183]// 000000005660: D3E100B4 0ED305B2
	v_mfma_f32_16x16x16_bf16 v[180:183], a[180:181], v[132:133], v[180:183]// 000000005668: D3E100B4 0ED309B4
	v_mfma_f32_16x16x16_bf16 v[180:183], a[182:183], v[134:135], v[180:183]// 000000005670: D3E100B4 0ED30DB6
	v_mfma_f32_16x16x16_bf16 v[180:183], a[184:185], v[136:137], v[180:183]// 000000005678: D3E100B4 0ED311B8
	v_mfma_f32_16x16x16_bf16 v[180:183], a[186:187], v[138:139], v[180:183]// 000000005680: D3E100B4 0ED315BA
	v_mfma_f32_16x16x16_bf16 v[180:183], a[188:189], v[140:141], v[180:183]// 000000005688: D3E100B4 0ED319BC
	v_mfma_f32_16x16x16_bf16 v[180:183], a[190:191], v[142:143], v[180:183]// 000000005690: D3E100B4 0ED31DBE
	s_nop 8                                                    // 000000005698: BF800008
	s_branch label_0F21                                        // 00000000569C: BF8201F8

00000000000056a0 <label_0D29>:
	s_waitcnt vmcnt(16) lgkmcnt(0)                             // 0000000056A0: BF8C4070
	s_barrier                                                  // 0000000056A4: BF8A0000
	v_mfma_f32_16x16x16_bf16 v[112:115], a[64:65], v[80:81], 0 // 0000000056A8: D3E10070 0A02A140
	v_mfma_f32_16x16x16_bf16 v[112:115], a[66:67], v[82:83], v[112:115]// 0000000056B0: D3E10070 0DC2A542
	v_mfma_f32_16x16x16_bf16 v[112:115], a[68:69], v[84:85], v[112:115]// 0000000056B8: D3E10070 0DC2A944
	v_mfma_f32_16x16x16_bf16 v[112:115], a[70:71], v[86:87], v[112:115]// 0000000056C0: D3E10070 0DC2AD46
	v_mfma_f32_16x16x16_bf16 v[112:115], a[72:73], v[88:89], v[112:115]// 0000000056C8: D3E10070 0DC2B148
	v_mfma_f32_16x16x16_bf16 v[112:115], a[74:75], v[90:91], v[112:115]// 0000000056D0: D3E10070 0DC2B54A
	v_mfma_f32_16x16x16_bf16 v[112:115], a[76:77], v[92:93], v[112:115]// 0000000056D8: D3E10070 0DC2B94C
	v_mfma_f32_16x16x16_bf16 v[112:115], a[78:79], v[94:95], v[112:115]// 0000000056E0: D3E10070 0DC2BD4E
	v_mfma_f32_16x16x16_bf16 v[116:119], a[80:81], v[80:81], 0 // 0000000056E8: D3E10074 0A02A150
	v_mfma_f32_16x16x16_bf16 v[116:119], a[82:83], v[82:83], v[116:119]// 0000000056F0: D3E10074 0DD2A552
	v_mfma_f32_16x16x16_bf16 v[116:119], a[84:85], v[84:85], v[116:119]// 0000000056F8: D3E10074 0DD2A954
	v_mfma_f32_16x16x16_bf16 v[116:119], a[86:87], v[86:87], v[116:119]// 000000005700: D3E10074 0DD2AD56
	v_mfma_f32_16x16x16_bf16 v[116:119], a[88:89], v[88:89], v[116:119]// 000000005708: D3E10074 0DD2B158
	v_mfma_f32_16x16x16_bf16 v[116:119], a[90:91], v[90:91], v[116:119]// 000000005710: D3E10074 0DD2B55A
	v_mfma_f32_16x16x16_bf16 v[116:119], a[92:93], v[92:93], v[116:119]// 000000005718: D3E10074 0DD2B95C
	v_mfma_f32_16x16x16_bf16 v[116:119], a[94:95], v[94:95], v[116:119]// 000000005720: D3E10074 0DD2BD5E
	v_mfma_f32_16x16x16_bf16 v[120:123], a[96:97], v[80:81], 0 // 000000005728: D3E10078 0A02A160
	v_mfma_f32_16x16x16_bf16 v[120:123], a[98:99], v[82:83], v[120:123]// 000000005730: D3E10078 0DE2A562
	v_mfma_f32_16x16x16_bf16 v[120:123], a[100:101], v[84:85], v[120:123]// 000000005738: D3E10078 0DE2A964
	v_mfma_f32_16x16x16_bf16 v[120:123], a[102:103], v[86:87], v[120:123]// 000000005740: D3E10078 0DE2AD66
	v_mfma_f32_16x16x16_bf16 v[120:123], a[104:105], v[88:89], v[120:123]// 000000005748: D3E10078 0DE2B168
	v_mfma_f32_16x16x16_bf16 v[120:123], a[106:107], v[90:91], v[120:123]// 000000005750: D3E10078 0DE2B56A
	v_mfma_f32_16x16x16_bf16 v[120:123], a[108:109], v[92:93], v[120:123]// 000000005758: D3E10078 0DE2B96C
	v_mfma_f32_16x16x16_bf16 v[120:123], a[110:111], v[94:95], v[120:123]// 000000005760: D3E10078 0DE2BD6E
	v_mfma_f32_16x16x16_bf16 v[124:127], a[112:113], v[80:81], 0// 000000005768: D3E1007C 0A02A170
	v_mfma_f32_16x16x16_bf16 v[124:127], a[114:115], v[82:83], v[124:127]// 000000005770: D3E1007C 0DF2A572
	v_mfma_f32_16x16x16_bf16 v[124:127], a[116:117], v[84:85], v[124:127]// 000000005778: D3E1007C 0DF2A974
	v_mfma_f32_16x16x16_bf16 v[124:127], a[118:119], v[86:87], v[124:127]// 000000005780: D3E1007C 0DF2AD76
	v_mfma_f32_16x16x16_bf16 v[124:127], a[120:121], v[88:89], v[124:127]// 000000005788: D3E1007C 0DF2B178
	v_mfma_f32_16x16x16_bf16 v[124:127], a[122:123], v[90:91], v[124:127]// 000000005790: D3E1007C 0DF2B57A
	v_mfma_f32_16x16x16_bf16 v[124:127], a[124:125], v[92:93], v[124:127]// 000000005798: D3E1007C 0DF2B97C
	v_mfma_f32_16x16x16_bf16 v[124:127], a[126:127], v[94:95], v[124:127]// 0000000057A0: D3E1007C 0DF2BD7E
	s_nop 8                                                    // 0000000057A8: BF800008
	s_and_b32 s60, s72, 0xff                                   // 0000000057AC: 863CFF48 000000FF
	v_mov_b32_e32 v56, s60                                     // 0000000057B4: 7E70023C
	v_lshrrev_b32_e32 v31, 4, v0                               // 0000000057B8: 203E0084
	v_mul_i32_i24_e32 v31, 4, v31                              // 0000000057BC: 0C3E3E84
	s_mul_i32 s60, s7, 16                                      // 0000000057C0: 923C9007
	v_add_u32_e32 v31, s60, v31                                // 0000000057C4: 683E3E3C
	v_add_u32_e32 v32, 1, v31                                  // 0000000057C8: 68403E81
	v_add_u32_e32 v33, 2, v31                                  // 0000000057CC: 68423E82
	v_add_u32_e32 v34, 3, v31                                  // 0000000057D0: 68443E83
	v_and_b32_e32 v39, v55, v9                                 // 0000000057D4: 264E1337
	v_cmp_lt_u32_e64 s[40:41], v31, v56                        // 0000000057D8: D0C90028 0002711F
	v_add_u32_e32 v31, 64, v31                                 // 0000000057E0: 683E3EC0
	s_nop 0                                                    // 0000000057E4: BF800000
	v_cndmask_b32_e64 v112, v39, v112, s[40:41]                // 0000000057E8: D1000070 00A2E127
	v_cmp_lt_u32_e64 s[40:41], v32, v56                        // 0000000057F0: D0C90028 00027120
	v_add_u32_e32 v32, 64, v32                                 // 0000000057F8: 684040C0
	s_nop 0                                                    // 0000000057FC: BF800000
	v_cndmask_b32_e64 v113, v39, v113, s[40:41]                // 000000005800: D1000071 00A2E327
	v_cmp_lt_u32_e64 s[40:41], v33, v56                        // 000000005808: D0C90028 00027121
	v_add_u32_e32 v33, 64, v33                                 // 000000005810: 684242C0
	s_nop 0                                                    // 000000005814: BF800000
	v_cndmask_b32_e64 v114, v39, v114, s[40:41]                // 000000005818: D1000072 00A2E527
	v_cmp_lt_u32_e64 s[40:41], v34, v56                        // 000000005820: D0C90028 00027122
	v_add_u32_e32 v34, 64, v34                                 // 000000005828: 684444C0
	s_nop 0                                                    // 00000000582C: BF800000
	v_cndmask_b32_e64 v115, v39, v115, s[40:41]                // 000000005830: D1000073 00A2E727
	v_cmp_lt_u32_e64 s[40:41], v31, v56                        // 000000005838: D0C90028 0002711F
	v_add_u32_e32 v31, 64, v31                                 // 000000005840: 683E3EC0
	s_nop 0                                                    // 000000005844: BF800000
	v_cndmask_b32_e64 v116, v39, v116, s[40:41]                // 000000005848: D1000074 00A2E927
	v_cmp_lt_u32_e64 s[40:41], v32, v56                        // 000000005850: D0C90028 00027120
	v_add_u32_e32 v32, 64, v32                                 // 000000005858: 684040C0
	s_nop 0                                                    // 00000000585C: BF800000
	v_cndmask_b32_e64 v117, v39, v117, s[40:41]                // 000000005860: D1000075 00A2EB27
	v_cmp_lt_u32_e64 s[40:41], v33, v56                        // 000000005868: D0C90028 00027121
	v_add_u32_e32 v33, 64, v33                                 // 000000005870: 684242C0
	s_nop 0                                                    // 000000005874: BF800000
	v_cndmask_b32_e64 v118, v39, v118, s[40:41]                // 000000005878: D1000076 00A2ED27
	v_cmp_lt_u32_e64 s[40:41], v34, v56                        // 000000005880: D0C90028 00027122
	v_add_u32_e32 v34, 64, v34                                 // 000000005888: 684444C0
	s_nop 0                                                    // 00000000588C: BF800000
	v_cndmask_b32_e64 v119, v39, v119, s[40:41]                // 000000005890: D1000077 00A2EF27
	v_cmp_lt_u32_e64 s[40:41], v31, v56                        // 000000005898: D0C90028 0002711F
	v_add_u32_e32 v31, 64, v31                                 // 0000000058A0: 683E3EC0
	s_nop 0                                                    // 0000000058A4: BF800000
	v_cndmask_b32_e64 v120, v39, v120, s[40:41]                // 0000000058A8: D1000078 00A2F127
	v_cmp_lt_u32_e64 s[40:41], v32, v56                        // 0000000058B0: D0C90028 00027120
	v_add_u32_e32 v32, 64, v32                                 // 0000000058B8: 684040C0
	s_nop 0                                                    // 0000000058BC: BF800000
	v_cndmask_b32_e64 v121, v39, v121, s[40:41]                // 0000000058C0: D1000079 00A2F327
	v_cmp_lt_u32_e64 s[40:41], v33, v56                        // 0000000058C8: D0C90028 00027121
	v_add_u32_e32 v33, 64, v33                                 // 0000000058D0: 684242C0
	s_nop 0                                                    // 0000000058D4: BF800000
	v_cndmask_b32_e64 v122, v39, v122, s[40:41]                // 0000000058D8: D100007A 00A2F527
	v_cmp_lt_u32_e64 s[40:41], v34, v56                        // 0000000058E0: D0C90028 00027122
	v_add_u32_e32 v34, 64, v34                                 // 0000000058E8: 684444C0
	s_nop 0                                                    // 0000000058EC: BF800000
	v_cndmask_b32_e64 v123, v39, v123, s[40:41]                // 0000000058F0: D100007B 00A2F727
	v_cmp_lt_u32_e64 s[40:41], v31, v56                        // 0000000058F8: D0C90028 0002711F
	v_add_u32_e32 v31, 64, v31                                 // 000000005900: 683E3EC0
	s_nop 0                                                    // 000000005904: BF800000
	v_cndmask_b32_e64 v124, v39, v124, s[40:41]                // 000000005908: D100007C 00A2F927
	v_cmp_lt_u32_e64 s[40:41], v32, v56                        // 000000005910: D0C90028 00027120
	v_add_u32_e32 v32, 64, v32                                 // 000000005918: 684040C0
	s_nop 0                                                    // 00000000591C: BF800000
	v_cndmask_b32_e64 v125, v39, v125, s[40:41]                // 000000005920: D100007D 00A2FB27
	v_cmp_lt_u32_e64 s[40:41], v33, v56                        // 000000005928: D0C90028 00027121
	v_add_u32_e32 v33, 64, v33                                 // 000000005930: 684242C0
	s_nop 0                                                    // 000000005934: BF800000
	v_cndmask_b32_e64 v126, v39, v126, s[40:41]                // 000000005938: D100007E 00A2FD27
	v_cmp_lt_u32_e64 s[40:41], v34, v56                        // 000000005940: D0C90028 00027122
	v_add_u32_e32 v34, 64, v34                                 // 000000005948: 684444C0
	s_nop 0                                                    // 00000000594C: BF800000
	v_cndmask_b32_e64 v127, v39, v127, s[40:41]                // 000000005950: D100007F 00A2FF27
	s_nop 8                                                    // 000000005958: BF800008
	v_or_b32_dpp v112, v120, v112 row_shr:8 row_mask:0xf bank_mask:0xf bound_ctrl:1// 00000000595C: 28E0E0FA FF091878
	v_or_b32_dpp v113, v121, v113 row_shr:8 row_mask:0xf bank_mask:0xf bound_ctrl:1// 000000005964: 28E2E2FA FF091879
	v_or_b32_dpp v114, v122, v114 row_shr:8 row_mask:0xf bank_mask:0xf bound_ctrl:1// 00000000596C: 28E4E4FA FF09187A
	v_or_b32_dpp v115, v123, v115 row_shr:8 row_mask:0xf bank_mask:0xf bound_ctrl:1// 000000005974: 28E6E6FA FF09187B
	v_or_b32_dpp v116, v124, v116 row_shr:8 row_mask:0xf bank_mask:0xf bound_ctrl:1// 00000000597C: 28E8E8FA FF09187C
	v_or_b32_dpp v117, v125, v117 row_shr:8 row_mask:0xf bank_mask:0xf bound_ctrl:1// 000000005984: 28EAEAFA FF09187D
	v_or_b32_dpp v118, v126, v118 row_shr:8 row_mask:0xf bank_mask:0xf bound_ctrl:1// 00000000598C: 28ECECFA FF09187E
	v_or_b32_dpp v119, v127, v119 row_shr:8 row_mask:0xf bank_mask:0xf bound_ctrl:1// 000000005994: 28EEEEFA FF09187F
	v_mov_b32_e32 v50, v112                                    // 00000000599C: 7E640370
	v_max3_f32 v50, v112, v113, v50                            // 0000000059A0: D1D30032 04CAE370
	v_max3_f32 v50, v114, v115, v50                            // 0000000059A8: D1D30032 04CAE772
	v_max3_f32 v50, v116, v117, v50                            // 0000000059B0: D1D30032 04CAEB74
	v_max3_f32 v50, v118, v119, v50                            // 0000000059B8: D1D30032 04CAEF76
	ds_write_b32 v11, v50                                      // 0000000059C0: D81A0000 0000320B
	s_waitcnt lgkmcnt(0)                                       // 0000000059C8: BF8CC07F
	s_barrier                                                  // 0000000059CC: BF8A0000
	ds_read_b32 v64, v10                                       // 0000000059D0: D86C0000 4000000A
	ds_read_b32 v65, v10 offset:64                             // 0000000059D8: D86C0040 4100000A
	ds_read_b32 v66, v10 offset:128                            // 0000000059E0: D86C0080 4200000A
	ds_read_b32 v67, v10 offset:192                            // 0000000059E8: D86C00C0 4300000A
	ds_read_b32 v68, v10 offset:256                            // 0000000059F0: D86C0100 4400000A
	ds_read_b32 v69, v10 offset:320                            // 0000000059F8: D86C0140 4500000A
	ds_read_b32 v70, v10 offset:384                            // 000000005A00: D86C0180 4600000A
	ds_read_b32 v71, v10 offset:448                            // 000000005A08: D86C01C0 4700000A
	ds_read_b32 v72, v10 offset:512                            // 000000005A10: D86C0200 4800000A
	ds_read_b32 v73, v10 offset:576                            // 000000005A18: D86C0240 4900000A
	ds_read_b32 v74, v10 offset:640                            // 000000005A20: D86C0280 4A00000A
	ds_read_b32 v75, v10 offset:704                            // 000000005A28: D86C02C0 4B00000A
	ds_read_b32 v76, v10 offset:768                            // 000000005A30: D86C0300 4C00000A
	ds_read_b32 v77, v10 offset:832                            // 000000005A38: D86C0340 4D00000A
	ds_read_b32 v78, v10 offset:896                            // 000000005A40: D86C0380 4E00000A
	ds_read_b32 v79, v10 offset:960                            // 000000005A48: D86C03C0 4F00000A
	s_waitcnt lgkmcnt(0)                                       // 000000005A50: BF8CC07F
	v_max3_f32 v50, v64, v65, v50                              // 000000005A54: D1D30032 04CA8340
	v_max3_f32 v50, v66, v67, v50                              // 000000005A5C: D1D30032 04CA8742
	v_max3_f32 v50, v68, v69, v50                              // 000000005A64: D1D30032 04CA8B44
	v_max3_f32 v50, v70, v71, v50                              // 000000005A6C: D1D30032 04CA8F46
	v_max3_f32 v50, v72, v73, v50                              // 000000005A74: D1D30032 04CA9348
	v_max3_f32 v50, v74, v75, v50                              // 000000005A7C: D1D30032 04CA974A
	v_max3_f32 v50, v76, v77, v50                              // 000000005A84: D1D30032 04CA9B4C
	v_max3_f32 v50, v78, v79, v50                              // 000000005A8C: D1D30032 04CA9F4E
	v_cmp_eq_u32_e64 s[40:41], v55, v14                        // 000000005A94: D0CA0028 00021D37
	s_nop 1                                                    // 000000005A9C: BF800001
	v_mov_b32_dpp v39, v50 row_ror:8 row_mask:0xf bank_mask:0xf// 000000005AA0: 7E4E02FA FF012832
	v_max_f32_e32 v50, v50, v39                                // 000000005AA8: 16644F32
	v_max_f32_e32 v16, v50, v14                                // 000000005AAC: 16201D32
	v_sub_f32_e32 v51, v14, v16                                // 000000005AB0: 0466210E
	v_cndmask_b32_e64 v51, v51, 0, s[40:41]                    // 000000005AB4: D1000033 00A10133
	v_mov_b32_e32 v14, v16                                     // 000000005ABC: 7E1C0310
	v_mul_f32_e32 v53, s64, v16                                // 000000005AC0: 0A6A2040
	v_mul_f32_e32 v51, s64, v51                                // 000000005AC4: 0A666640
	v_exp_f32_e32 v51, v51                                     // 000000005AC8: 7E664133
	v_fma_f32 v112, v112, s64, -v53                            // 000000005ACC: D1CB0070 84D48170
	v_fma_f32 v113, v113, s64, -v53                            // 000000005AD4: D1CB0071 84D48171
	v_fma_f32 v114, v114, s64, -v53                            // 000000005ADC: D1CB0072 84D48172
	v_fma_f32 v115, v115, s64, -v53                            // 000000005AE4: D1CB0073 84D48173
	v_fma_f32 v116, v116, s64, -v53                            // 000000005AEC: D1CB0074 84D48174
	v_fma_f32 v117, v117, s64, -v53                            // 000000005AF4: D1CB0075 84D48175
	v_fma_f32 v118, v118, s64, -v53                            // 000000005AFC: D1CB0076 84D48176
	v_fma_f32 v119, v119, s64, -v53                            // 000000005B04: D1CB0077 84D48177
	v_exp_f32_e32 v112, v112                                   // 000000005B0C: 7EE04170
	v_exp_f32_e32 v113, v113                                   // 000000005B10: 7EE24171
	v_exp_f32_e32 v114, v114                                   // 000000005B14: 7EE44172
	v_exp_f32_e32 v115, v115                                   // 000000005B18: 7EE64173
	v_exp_f32_e32 v116, v116                                   // 000000005B1C: 7EE84174
	v_exp_f32_e32 v117, v117                                   // 000000005B20: 7EEA4175
	v_exp_f32_e32 v118, v118                                   // 000000005B24: 7EEC4176
	v_exp_f32_e32 v119, v119                                   // 000000005B28: 7EEE4177
	v_mul_f32_e32 v43, v51, v43                                // 000000005B2C: 0A565733
	v_mov_b32_e32 v45, v112                                    // 000000005B30: 7E5A0370
	v_add_f32_e32 v45, v113, v45                               // 000000005B34: 025A5B71
	v_add_f32_e32 v45, v114, v45                               // 000000005B38: 025A5B72
	v_add_f32_e32 v45, v115, v45                               // 000000005B3C: 025A5B73
	v_add_f32_e32 v45, v116, v45                               // 000000005B40: 025A5B74
	v_add_f32_e32 v45, v117, v45                               // 000000005B44: 025A5B75
	v_add_f32_e32 v45, v118, v45                               // 000000005B48: 025A5B76
	v_add_f32_e32 v45, v119, v45                               // 000000005B4C: 025A5B77
	v_add_f32_e32 v43, v45, v43                                // 000000005B50: 0256572D
	v_cmp_u_f32_e64 s[40:41], v112, v112                       // 000000005B54: D0480028 0002E170
	v_add3_u32 v19, v112, v22, 1                               // 000000005B5C: D1FF0013 02062D70
	v_cndmask_b32_e64 v39, v19, v21, s[40:41]                  // 000000005B64: D1000027 00A22B13
	v_cmp_u_f32_e64 s[40:41], v113, v113                       // 000000005B6C: D0480028 0002E371
	v_add3_u32 v19, v113, v22, 1                               // 000000005B74: D1FF0013 02062D71
	v_cndmask_b32_e64 v40, v19, v21, s[40:41]                  // 000000005B7C: D1000028 00A22B13
	v_perm_b32 v112, v40, v39, s52                             // 000000005B84: D1ED0070 00D24F28
	v_cmp_u_f32_e64 s[40:41], v114, v114                       // 000000005B8C: D0480028 0002E572
	v_add3_u32 v19, v114, v22, 1                               // 000000005B94: D1FF0013 02062D72
	v_cndmask_b32_e64 v39, v19, v21, s[40:41]                  // 000000005B9C: D1000027 00A22B13
	v_cmp_u_f32_e64 s[40:41], v115, v115                       // 000000005BA4: D0480028 0002E773
	v_add3_u32 v19, v115, v22, 1                               // 000000005BAC: D1FF0013 02062D73
	v_cndmask_b32_e64 v40, v19, v21, s[40:41]                  // 000000005BB4: D1000028 00A22B13
	v_perm_b32 v113, v40, v39, s52                             // 000000005BBC: D1ED0071 00D24F28
	v_cmp_u_f32_e64 s[40:41], v116, v116                       // 000000005BC4: D0480028 0002E974
	v_add3_u32 v19, v116, v22, 1                               // 000000005BCC: D1FF0013 02062D74
	v_cndmask_b32_e64 v39, v19, v21, s[40:41]                  // 000000005BD4: D1000027 00A22B13
	v_cmp_u_f32_e64 s[40:41], v117, v117                       // 000000005BDC: D0480028 0002EB75
	v_add3_u32 v19, v117, v22, 1                               // 000000005BE4: D1FF0013 02062D75
	v_cndmask_b32_e64 v40, v19, v21, s[40:41]                  // 000000005BEC: D1000028 00A22B13
	v_perm_b32 v114, v40, v39, s52                             // 000000005BF4: D1ED0072 00D24F28
	v_cmp_u_f32_e64 s[40:41], v118, v118                       // 000000005BFC: D0480028 0002ED76
	v_add3_u32 v19, v118, v22, 1                               // 000000005C04: D1FF0013 02062D76
	v_cndmask_b32_e64 v39, v19, v21, s[40:41]                  // 000000005C0C: D1000027 00A22B13
	v_cmp_u_f32_e64 s[40:41], v119, v119                       // 000000005C14: D0480028 0002EF77
	v_add3_u32 v19, v119, v22, 1                               // 000000005C1C: D1FF0013 02062D77
	v_cndmask_b32_e64 v40, v19, v21, s[40:41]                  // 000000005C24: D1000028 00A22B13
	v_perm_b32 v115, v40, v39, s52                             // 000000005C2C: D1ED0073 00D24F28
	ds_write_b64 v13, v[112:113] offset:4096                   // 000000005C34: D89A1000 0000700D
	ds_write_b64 v13, v[114:115] offset:6144                   // 000000005C3C: D89A1800 0000720D
	s_waitcnt lgkmcnt(0)                                       // 000000005C44: BF8CC07F
	s_barrier                                                  // 000000005C48: BF8A0000
	ds_read_b64 v[112:113], v12 offset:4096                    // 000000005C4C: D8EC1000 7000000C
	ds_read_b64 v[114:115], v12 offset:4224                    // 000000005C54: D8EC1080 7200000C
	ds_read_b64 v[116:117], v12 offset:5120                    // 000000005C5C: D8EC1400 7400000C
	ds_read_b64 v[118:119], v12 offset:5248                    // 000000005C64: D8EC1480 7600000C
	ds_read_b64 v[120:121], v12 offset:6144                    // 000000005C6C: D8EC1800 7800000C
	ds_read_b64 v[122:123], v12 offset:6272                    // 000000005C74: D8EC1880 7A00000C
	ds_read_b64 v[124:125], v12 offset:7168                    // 000000005C7C: D8EC1C00 7C00000C
	ds_read_b64 v[126:127], v12 offset:7296                    // 000000005C84: D8EC1C80 7E00000C
	s_waitcnt lgkmcnt(0)                                       // 000000005C8C: BF8CC07F
	v_mov_b32_dpp v128, v112 row_shl:8 row_mask:0xf bank_mask:0xf bound_ctrl:1// 000000005C90: 7F0002FA FF090870
	v_and_b32_e32 v112, v112, v9                               // 000000005C98: 26E01370
	v_mov_b32_dpp v129, v113 row_shl:8 row_mask:0xf bank_mask:0xf bound_ctrl:1// 000000005C9C: 7F0202FA FF090871
	v_and_b32_e32 v113, v113, v9                               // 000000005CA4: 26E21371
	v_mov_b32_dpp v130, v114 row_shl:8 row_mask:0xf bank_mask:0xf bound_ctrl:1// 000000005CA8: 7F0402FA FF090872
	v_and_b32_e32 v114, v114, v9                               // 000000005CB0: 26E41372
	v_mov_b32_dpp v131, v115 row_shl:8 row_mask:0xf bank_mask:0xf bound_ctrl:1// 000000005CB4: 7F0602FA FF090873
	v_and_b32_e32 v115, v115, v9                               // 000000005CBC: 26E61373
	v_mov_b32_dpp v132, v116 row_shl:8 row_mask:0xf bank_mask:0xf bound_ctrl:1// 000000005CC0: 7F0802FA FF090874
	v_and_b32_e32 v116, v116, v9                               // 000000005CC8: 26E81374
	v_mov_b32_dpp v133, v117 row_shl:8 row_mask:0xf bank_mask:0xf bound_ctrl:1// 000000005CCC: 7F0A02FA FF090875
	v_and_b32_e32 v117, v117, v9                               // 000000005CD4: 26EA1375
	v_mov_b32_dpp v134, v118 row_shl:8 row_mask:0xf bank_mask:0xf bound_ctrl:1// 000000005CD8: 7F0C02FA FF090876
	v_and_b32_e32 v118, v118, v9                               // 000000005CE0: 26EC1376
	v_mov_b32_dpp v135, v119 row_shl:8 row_mask:0xf bank_mask:0xf bound_ctrl:1// 000000005CE4: 7F0E02FA FF090877
	v_and_b32_e32 v119, v119, v9                               // 000000005CEC: 26EE1377
	v_mov_b32_dpp v136, v120 row_shl:8 row_mask:0xf bank_mask:0xf bound_ctrl:1// 000000005CF0: 7F1002FA FF090878
	v_and_b32_e32 v120, v120, v9                               // 000000005CF8: 26F01378
	v_mov_b32_dpp v137, v121 row_shl:8 row_mask:0xf bank_mask:0xf bound_ctrl:1// 000000005CFC: 7F1202FA FF090879
	v_and_b32_e32 v121, v121, v9                               // 000000005D04: 26F21379
	v_mov_b32_dpp v138, v122 row_shl:8 row_mask:0xf bank_mask:0xf bound_ctrl:1// 000000005D08: 7F1402FA FF09087A
	v_and_b32_e32 v122, v122, v9                               // 000000005D10: 26F4137A
	v_mov_b32_dpp v139, v123 row_shl:8 row_mask:0xf bank_mask:0xf bound_ctrl:1// 000000005D14: 7F1602FA FF09087B
	v_and_b32_e32 v123, v123, v9                               // 000000005D1C: 26F6137B
	v_mov_b32_dpp v140, v124 row_shl:8 row_mask:0xf bank_mask:0xf bound_ctrl:1// 000000005D20: 7F1802FA FF09087C
	v_and_b32_e32 v124, v124, v9                               // 000000005D28: 26F8137C
	v_mov_b32_dpp v141, v125 row_shl:8 row_mask:0xf bank_mask:0xf bound_ctrl:1// 000000005D2C: 7F1A02FA FF09087D
	v_and_b32_e32 v125, v125, v9                               // 000000005D34: 26FA137D
	v_mov_b32_dpp v142, v126 row_shl:8 row_mask:0xf bank_mask:0xf bound_ctrl:1// 000000005D38: 7F1C02FA FF09087E
	v_and_b32_e32 v126, v126, v9                               // 000000005D40: 26FC137E
	v_mov_b32_dpp v143, v127 row_shl:8 row_mask:0xf bank_mask:0xf bound_ctrl:1// 000000005D44: 7F1E02FA FF09087F
	v_and_b32_e32 v127, v127, v9                               // 000000005D4C: 26FE137F
	v_mul_f32_e32 v176, v51, v176                              // 000000005D50: 0B616133
	v_mul_f32_e32 v177, v51, v177                              // 000000005D54: 0B636333
	v_mul_f32_e32 v178, v51, v178                              // 000000005D58: 0B656533
	v_mul_f32_e32 v179, v51, v179                              // 000000005D5C: 0B676733
	v_mul_f32_e32 v180, v51, v180                              // 000000005D60: 0B696933
	v_mul_f32_e32 v181, v51, v181                              // 000000005D64: 0B6B6B33
	v_mul_f32_e32 v182, v51, v182                              // 000000005D68: 0B6D6D33
	v_mul_f32_e32 v183, v51, v183                              // 000000005D6C: 0B6F6F33
	s_waitcnt vmcnt(0)                                         // 000000005D70: BF8C0F70
	s_barrier                                                  // 000000005D74: BF8A0000
	v_mfma_f32_16x16x16_bf16 v[176:179], a[192:193], v[112:113], v[176:179]// 000000005D78: D3E100B0 0EC2E1C0
	v_mfma_f32_16x16x16_bf16 v[176:179], a[194:195], v[114:115], v[176:179]// 000000005D80: D3E100B0 0EC2E5C2
	v_mfma_f32_16x16x16_bf16 v[176:179], a[196:197], v[116:117], v[176:179]// 000000005D88: D3E100B0 0EC2E9C4
	v_mfma_f32_16x16x16_bf16 v[176:179], a[198:199], v[118:119], v[176:179]// 000000005D90: D3E100B0 0EC2EDC6
	v_mfma_f32_16x16x16_bf16 v[176:179], a[200:201], v[120:121], v[176:179]// 000000005D98: D3E100B0 0EC2F1C8
	v_mfma_f32_16x16x16_bf16 v[176:179], a[202:203], v[122:123], v[176:179]// 000000005DA0: D3E100B0 0EC2F5CA
	v_mfma_f32_16x16x16_bf16 v[176:179], a[204:205], v[124:125], v[176:179]// 000000005DA8: D3E100B0 0EC2F9CC
	v_mfma_f32_16x16x16_bf16 v[176:179], a[206:207], v[126:127], v[176:179]// 000000005DB0: D3E100B0 0EC2FDCE
	v_mfma_f32_16x16x16_bf16 v[176:179], a[208:209], v[128:129], v[176:179]// 000000005DB8: D3E100B0 0EC301D0
	v_mfma_f32_16x16x16_bf16 v[176:179], a[210:211], v[130:131], v[176:179]// 000000005DC0: D3E100B0 0EC305D2
	v_mfma_f32_16x16x16_bf16 v[176:179], a[212:213], v[132:133], v[176:179]// 000000005DC8: D3E100B0 0EC309D4
	v_mfma_f32_16x16x16_bf16 v[176:179], a[214:215], v[134:135], v[176:179]// 000000005DD0: D3E100B0 0EC30DD6
	v_mfma_f32_16x16x16_bf16 v[176:179], a[216:217], v[136:137], v[176:179]// 000000005DD8: D3E100B0 0EC311D8
	v_mfma_f32_16x16x16_bf16 v[176:179], a[218:219], v[138:139], v[176:179]// 000000005DE0: D3E100B0 0EC315DA
	v_mfma_f32_16x16x16_bf16 v[176:179], a[220:221], v[140:141], v[176:179]// 000000005DE8: D3E100B0 0EC319DC
	v_mfma_f32_16x16x16_bf16 v[176:179], a[222:223], v[142:143], v[176:179]// 000000005DF0: D3E100B0 0EC31DDE
	v_mfma_f32_16x16x16_bf16 v[180:183], a[224:225], v[112:113], v[180:183]// 000000005DF8: D3E100B4 0ED2E1E0
	v_mfma_f32_16x16x16_bf16 v[180:183], a[226:227], v[114:115], v[180:183]// 000000005E00: D3E100B4 0ED2E5E2
	v_mfma_f32_16x16x16_bf16 v[180:183], a[228:229], v[116:117], v[180:183]// 000000005E08: D3E100B4 0ED2E9E4
	v_mfma_f32_16x16x16_bf16 v[180:183], a[230:231], v[118:119], v[180:183]// 000000005E10: D3E100B4 0ED2EDE6
	v_mfma_f32_16x16x16_bf16 v[180:183], a[232:233], v[120:121], v[180:183]// 000000005E18: D3E100B4 0ED2F1E8
	v_mfma_f32_16x16x16_bf16 v[180:183], a[234:235], v[122:123], v[180:183]// 000000005E20: D3E100B4 0ED2F5EA
	v_mfma_f32_16x16x16_bf16 v[180:183], a[236:237], v[124:125], v[180:183]// 000000005E28: D3E100B4 0ED2F9EC
	v_mfma_f32_16x16x16_bf16 v[180:183], a[238:239], v[126:127], v[180:183]// 000000005E30: D3E100B4 0ED2FDEE
	v_mfma_f32_16x16x16_bf16 v[180:183], a[240:241], v[128:129], v[180:183]// 000000005E38: D3E100B4 0ED301F0
	v_mfma_f32_16x16x16_bf16 v[180:183], a[242:243], v[130:131], v[180:183]// 000000005E40: D3E100B4 0ED305F2
	v_mfma_f32_16x16x16_bf16 v[180:183], a[244:245], v[132:133], v[180:183]// 000000005E48: D3E100B4 0ED309F4
	v_mfma_f32_16x16x16_bf16 v[180:183], a[246:247], v[134:135], v[180:183]// 000000005E50: D3E100B4 0ED30DF6
	v_mfma_f32_16x16x16_bf16 v[180:183], a[248:249], v[136:137], v[180:183]// 000000005E58: D3E100B4 0ED311F8
	v_mfma_f32_16x16x16_bf16 v[180:183], a[250:251], v[138:139], v[180:183]// 000000005E60: D3E100B4 0ED315FA
	v_mfma_f32_16x16x16_bf16 v[180:183], a[252:253], v[140:141], v[180:183]// 000000005E68: D3E100B4 0ED319FC
	v_mfma_f32_16x16x16_bf16 v[180:183], a[254:255], v[142:143], v[180:183]// 000000005E70: D3E100B4 0ED31DFE
	s_nop 8                                                    // 000000005E78: BF800008
	s_branch label_0F21                                        // 000000005E7C: BF820000

0000000000005e80 <label_0F21>:
	ds_write_b32 v11, v43                                      // 000000005E80: D81A0000 00002B0B
	s_waitcnt lgkmcnt(0)                                       // 000000005E88: BF8CC07F
	s_barrier                                                  // 000000005E8C: BF8A0000
	ds_read_b32 v64, v10                                       // 000000005E90: D86C0000 4000000A
	ds_read_b32 v65, v10 offset:64                             // 000000005E98: D86C0040 4100000A
	ds_read_b32 v66, v10 offset:128                            // 000000005EA0: D86C0080 4200000A
	ds_read_b32 v67, v10 offset:192                            // 000000005EA8: D86C00C0 4300000A
	ds_read_b32 v68, v10 offset:256                            // 000000005EB0: D86C0100 4400000A
	ds_read_b32 v69, v10 offset:320                            // 000000005EB8: D86C0140 4500000A
	ds_read_b32 v70, v10 offset:384                            // 000000005EC0: D86C0180 4600000A
	ds_read_b32 v71, v10 offset:448                            // 000000005EC8: D86C01C0 4700000A
	ds_read_b32 v72, v10 offset:512                            // 000000005ED0: D86C0200 4800000A
	ds_read_b32 v73, v10 offset:576                            // 000000005ED8: D86C0240 4900000A
	ds_read_b32 v74, v10 offset:640                            // 000000005EE0: D86C0280 4A00000A
	ds_read_b32 v75, v10 offset:704                            // 000000005EE8: D86C02C0 4B00000A
	ds_read_b32 v76, v10 offset:768                            // 000000005EF0: D86C0300 4C00000A
	ds_read_b32 v77, v10 offset:832                            // 000000005EF8: D86C0340 4D00000A
	ds_read_b32 v78, v10 offset:896                            // 000000005F00: D86C0380 4E00000A
	ds_read_b32 v79, v10 offset:960                            // 000000005F08: D86C03C0 4F00000A
	s_waitcnt lgkmcnt(0)                                       // 000000005F10: BF8CC07F
	v_mov_b32_e32 v43, 0                                       // 000000005F14: 7E560280
	v_add_f32_e32 v43, v64, v43                                // 000000005F18: 02565740
	v_add_f32_e32 v43, v65, v43                                // 000000005F1C: 02565741
	v_add_f32_e32 v43, v66, v43                                // 000000005F20: 02565742
	v_add_f32_e32 v43, v67, v43                                // 000000005F24: 02565743
	v_add_f32_e32 v43, v68, v43                                // 000000005F28: 02565744
	v_add_f32_e32 v43, v69, v43                                // 000000005F2C: 02565745
	v_add_f32_e32 v43, v70, v43                                // 000000005F30: 02565746
	v_add_f32_e32 v43, v71, v43                                // 000000005F34: 02565747
	v_add_f32_e32 v43, v72, v43                                // 000000005F38: 02565748
	v_add_f32_e32 v43, v73, v43                                // 000000005F3C: 02565749
	v_add_f32_e32 v43, v74, v43                                // 000000005F40: 0256574A
	v_add_f32_e32 v43, v75, v43                                // 000000005F44: 0256574B
	v_add_f32_e32 v43, v76, v43                                // 000000005F48: 0256574C
	v_add_f32_e32 v43, v77, v43                                // 000000005F4C: 0256574D
	v_add_f32_e32 v43, v78, v43                                // 000000005F50: 0256574E
	v_add_f32_e32 v43, v79, v43                                // 000000005F54: 0256574F
	s_nop 1                                                    // 000000005F58: BF800001
	v_mov_b32_dpp v39, v43 row_ror:8 row_mask:0xf bank_mask:0xf// 000000005F5C: 7E4E02FA FF01282B
	v_add_f32_e32 v43, v43, v39                                // 000000005F64: 02564F2B
	v_rcp_f32_e32 v43, v43                                     // 000000005F68: 7E56452B
	s_nop 1                                                    // 000000005F6C: BF800001
	v_mul_f32_e32 v176, v43, v176                              // 000000005F70: 0B61612B
	v_mul_f32_e32 v177, v43, v177                              // 000000005F74: 0B63632B
	v_mul_f32_e32 v178, v43, v178                              // 000000005F78: 0B65652B
	v_mul_f32_e32 v179, v43, v179                              // 000000005F7C: 0B67672B
	v_mul_f32_e32 v180, v43, v180                              // 000000005F80: 0B69692B
	v_mul_f32_e32 v181, v43, v181                              // 000000005F84: 0B6B6B2B
	v_mul_f32_e32 v182, v43, v182                              // 000000005F88: 0B6D6D2B
	v_mul_f32_e32 v183, v43, v183                              // 000000005F8C: 0B6F6F2B
	v_cmp_u_f32_e64 s[40:41], v176, v176                       // 000000005F90: D0480028 000361B0
	v_add3_u32 v19, v176, v22, 1                               // 000000005F98: D1FF0013 02062DB0
	v_cndmask_b32_e64 v39, v19, v21, s[40:41]                  // 000000005FA0: D1000027 00A22B13
	v_cmp_u_f32_e64 s[40:41], v177, v177                       // 000000005FA8: D0480028 000363B1
	v_add3_u32 v19, v177, v22, 1                               // 000000005FB0: D1FF0013 02062DB1
	v_cndmask_b32_e64 v40, v19, v21, s[40:41]                  // 000000005FB8: D1000028 00A22B13
	v_perm_b32 v176, v40, v39, s52                             // 000000005FC0: D1ED00B0 00D24F28
	v_cmp_u_f32_e64 s[40:41], v178, v178                       // 000000005FC8: D0480028 000365B2
	v_add3_u32 v19, v178, v22, 1                               // 000000005FD0: D1FF0013 02062DB2
	v_cndmask_b32_e64 v39, v19, v21, s[40:41]                  // 000000005FD8: D1000027 00A22B13
	v_cmp_u_f32_e64 s[40:41], v179, v179                       // 000000005FE0: D0480028 000367B3
	v_add3_u32 v19, v179, v22, 1                               // 000000005FE8: D1FF0013 02062DB3
	v_cndmask_b32_e64 v40, v19, v21, s[40:41]                  // 000000005FF0: D1000028 00A22B13
	v_perm_b32 v177, v40, v39, s52                             // 000000005FF8: D1ED00B1 00D24F28
	v_cmp_u_f32_e64 s[40:41], v180, v180                       // 000000006000: D0480028 000369B4
	v_add3_u32 v19, v180, v22, 1                               // 000000006008: D1FF0013 02062DB4
	v_cndmask_b32_e64 v39, v19, v21, s[40:41]                  // 000000006010: D1000027 00A22B13
	v_cmp_u_f32_e64 s[40:41], v181, v181                       // 000000006018: D0480028 00036BB5
	v_add3_u32 v19, v181, v22, 1                               // 000000006020: D1FF0013 02062DB5
	v_cndmask_b32_e64 v40, v19, v21, s[40:41]                  // 000000006028: D1000028 00A22B13
	v_perm_b32 v178, v40, v39, s52                             // 000000006030: D1ED00B2 00D24F28
	v_cmp_u_f32_e64 s[40:41], v182, v182                       // 000000006038: D0480028 00036DB6
	v_add3_u32 v19, v182, v22, 1                               // 000000006040: D1FF0013 02062DB6
	v_cndmask_b32_e64 v39, v19, v21, s[40:41]                  // 000000006048: D1000027 00A22B13
	v_cmp_u_f32_e64 s[40:41], v183, v183                       // 000000006050: D0480028 00036FB7
	v_add3_u32 v19, v183, v22, 1                               // 000000006058: D1FF0013 02062DB7
	v_cndmask_b32_e64 v40, v19, v21, s[40:41]                  // 000000006060: D1000028 00A22B13
	v_perm_b32 v179, v40, v39, s52                             // 000000006068: D1ED00B3 00D24F28
	v_lshrrev_b32_e32 v39, 4, v0                               // 000000006070: 204E0084
	v_mul_i32_i24_e32 v5, 34, v39                              // 000000006074: 0C0A4EA2
	v_and_b32_e32 v39, 15, v0                                  // 000000006078: 264E008F
	v_mul_i32_i24_e32 v40, 2, v39                              // 00000000607C: 0C504E82
	v_add_u32_e32 v5, v40, v5                                  // 000000006080: 680A0B28
	s_mul_i32 s60, s7, 0x88                                    // 000000006084: 923CFF07 00000088
	v_add_u32_e32 v5, s60, v5                                  // 00000000608C: 680A0A3C
	v_lshlrev_b32_e32 v5, 2, v5                                // 000000006090: 240A0A82
	ds_write_b64 v5, v[176:177] offset:36864                   // 000000006094: D89A9000 0000B005
	ds_write_b64 v5, v[178:179] offset:39040                   // 00000000609C: D89A9880 0000B205
	v_lshrrev_b32_e32 v39, 1, v0                               // 0000000060A4: 204E0081
	v_mul_i32_i24_e32 v5, 34, v39                              // 0000000060A8: 0C0A4EA2
	v_and_b32_e32 v40, 1, v0                                   // 0000000060AC: 26500081
	v_add_u32_e32 v5, v40, v5                                  // 0000000060B0: 680A0B28
	s_mul_i32 s60, s7, 2                                       // 0000000060B4: 923C8207
	v_add_u32_e32 v5, s60, v5                                  // 0000000060B8: 680A0A3C
	v_lshlrev_b32_e32 v5, 2, v5                                // 0000000060BC: 240A0A82
	s_waitcnt lgkmcnt(0)                                       // 0000000060C0: BF8CC07F
	s_barrier                                                  // 0000000060C4: BF8A0000
	ds_read_b32 v176, v5 offset:36864                          // 0000000060C8: D86C9000 B0000005
	ds_read_b32 v177, v5 offset:36896                          // 0000000060D0: D86C9020 B1000005
	s_waitcnt lgkmcnt(0)                                       // 0000000060D8: BF8CC07F
	buffer_store_dword v176, v8, s[8:11], 0 offen              // 0000000060DC: E0701000 8002B008
	buffer_store_dword v177, v8, s[8:11], 0 offen offset:1024  // 0000000060E4: E0701400 8002B108
	s_branch label_4371                                        // 0000000060EC: BF8233B4

00000000000060f0 <label_0FBD>:
	s_mul_i32 s60, s3, s65                                     // 0000000060F0: 923C4103
	s_mul_i32 s60, s60, 4                                      // 0000000060F4: 923C843C
	s_add_u32 s24, s60, s24                                    // 0000000060F8: 8018183C
	s_addc_u32 s25, 0, s25                                     // 0000000060FC: 82191980
	s_mov_b32 s56, 64                                          // 000000006100: BEB800C0
	s_waitcnt lgkmcnt(0)                                       // 000000006104: BF8CC07F
	s_add_u32 s73, s72, 15                                     // 000000006108: 80498F48
	s_lshr_b32 s73, s73, 4                                     // 00000000610C: 8F498449
	s_mul_i32 s60, s73, 4                                      // 000000006110: 923C8449
	s_mov_b32 s26, s60                                         // 000000006114: BE9A003C
	s_sub_u32 s89, s72, s86                                    // 000000006118: 80D95648
	s_mov_b32 s90, 0xff                                        // 00000000611C: BEDA00FF 000000FF
	s_mov_b32 s91, 0x100                                       // 000000006124: BEDB00FF 00000100
	v_and_b32_e32 v40, 3, v0                                   // 00000000612C: 26500083
	v_cmp_eq_u32_e64 s[60:61], 0, v40                          // 000000006130: D0CA003C 00025080
	v_and_b32_e32 v39, 12, v0                                  // 000000006138: 264E008C
	v_add_u32_e32 v1, s7, v39                                  // 00000000613C: 68024E07
	v_cndmask_b32_e64 v1, 0, v1, s[60:61]                      // 000000006140: D1000001 00F20280
	v_and_b32_e32 v40, 3, v0                                   // 000000006148: 26500083
	v_cmp_eq_u32_e64 s[60:61], 0, v40                          // 00000000614C: D0CA003C 00025080
	v_lshrrev_b32_e32 v39, 5, v0                               // 000000006154: 204E0085
	v_and_b32_e32 v40, 14, v0                                  // 000000006158: 2650008E
	v_add_u32_e32 v39, v40, v39                                // 00000000615C: 684E4F28
	v_cndmask_b32_e64 v39, v39, 0, s[60:61]                    // 000000006160: D1000027 00F10127
	v_add_u32_e32 v1, v1, v39                                  // 000000006168: 68024F01
	v_lshlrev_b32_e32 v1, 2, v1                                // 00000000616C: 24020282
	v_writelane_b32 v1, 56, 7                                  // 000000006170: D28A0001 00010EB8
	v_writelane_b32 v1, 56, 23                                 // 000000006178: D28A0001 00012EB8
	v_writelane_b32 v1, 60, 39                                 // 000000006180: D28A0001 00014EBC
	v_writelane_b32 v1, 60, 55                                 // 000000006188: D28A0001 00016EBC
	buffer_load_dword v17, v1, s[24:27], 0 offen               // 000000006190: E0501000 80061101
	v_add_u32_e32 v1, s56, v1                                  // 000000006198: 68020238
	buffer_load_dword v18, v1, s[24:27], 0 offen               // 00000000619C: E0501000 80061201
	s_cmp_le_u32 s73, 32                                       // 0000000061A4: BF0BA049
	s_cselect_b32 s56, 0, s56                                  // 0000000061A8: 85383880
	s_mul_i32 s61, s2, s67                                     // 0000000061AC: 923D4302
	s_mul_i32 s60, s84, s74                                    // 0000000061B0: 923C4A54
	s_add_u32 s60, s60, s61                                    // 0000000061B4: 803C3D3C
	s_add_u32 s12, s60, s12                                    // 0000000061B8: 800C0C3C
	s_addc_u32 s13, 0, s13                                     // 0000000061BC: 820D0D80
	s_mul_i32 s60, s7, 0x420                                   // 0000000061C0: 923CFF07 00000420
	s_add_u32 m0, 0, s60                                       // 0000000061C8: 807C3C80
	s_mul_i32 s60, s7, 0x100                                   // 0000000061CC: 923CFF07 00000100
	v_lshlrev_b32_e32 v39, 2, v0                               // 0000000061D4: 244E0082
	v_add_u32_e64 v39, v39, s60                                // 0000000061D8: D1340027 00007927
	v_add_u32_e32 v40, 0x400, v39                              // 0000000061E0: 68504EFF 00000400
	buffer_load_dword v39, s[12:15], 0 offen lds               // 0000000061E8: E0511000 80030027
	s_add_u32 m0, m0, 0x100                                    // 0000000061F0: 807CFF7C 00000100
	buffer_load_dword v40, s[12:15], 0 offen lds               // 0000000061F8: E0511000 80030028
	s_add_u32 m0, m0, 0x100                                    // 000000006200: 807CFF7C 00000100
	s_add_u32 s12, s74, s12                                    // 000000006208: 800C0C4A
	s_addc_u32 s13, 0, s13                                     // 00000000620C: 820D0D80
	buffer_load_dword v39, s[12:15], 0 offen lds               // 000000006210: E0511000 80030027
	s_add_u32 m0, m0, 0x100                                    // 000000006218: 807CFF7C 00000100
	buffer_load_dword v40, s[12:15], 0 offen lds               // 000000006220: E0511000 80030028
	s_add_u32 m0, m0, 0x100                                    // 000000006228: 807CFF7C 00000100
	s_mul_i32 s61, s2, s76                                     // 000000006230: 923D4C02
	s_mul_i32 s60, s84, s75                                    // 000000006234: 923C4B54
	s_add_u32 s60, s60, s61                                    // 000000006238: 803C3D3C
	s_add_u32 s8, s60, s8                                      // 00000000623C: 8008083C
	s_addc_u32 s9, 0, s9                                       // 000000006240: 82090980
	s_mul_i32 s60, s7, 0x100                                   // 000000006244: 923CFF07 00000100
	v_lshlrev_b32_e32 v8, 2, v0                                // 00000000624C: 24100082
	v_add_u32_e64 v8, v8, s60                                  // 000000006250: D1340008 00007908
	s_mov_b32 s70, 0                                           // 000000006258: BEC60080
	s_and_b32 s71, s72, 0xffffff00                             // 00000000625C: 8647FF48 FFFFFF00
	v_mov_b32_e32 v54, s68                                     // 000000006264: 7E6C0244
	v_mov_b32_e32 v9, -1                                       // 000000006268: 7E1202C1
	s_mov_b32 s52, 0x7060302                                   // 00000000626C: BEB400FF 07060302
	s_mov_b32 s53, 0x400                                       // 000000006274: BEB500FF 00000400
	s_mov_b32 s54, 0x40100                                     // 00000000627C: BEB600FF 00040100
	s_mov_b32 s55, 0x4020100                                   // 000000006284: BEB700FF 04020100
	v_mov_b32_dpp v9, v9 row_shl:8 row_mask:0xf bank_mask:0xf bound_ctrl:1// 00000000628C: 7E1202FA FF090809
	s_mov_b32 s6, 0x3fb8aa3b                                   // 000000006294: BE8600FF 3FB8AA3B
	v_mov_b32_e32 v14, 0xff800000                              // 00000000629C: 7E1C02FF FF800000
	v_mov_b32_e32 v55, 0xff800000                              // 0000000062A4: 7E6E02FF FF800000
	v_mov_b32_e32 v51, 0                                       // 0000000062AC: 7E660280
	v_mov_b32_e32 v43, 0                                       // 0000000062B0: 7E560280
	v_mov_b32_e32 v20, 0xffff0000                              // 0000000062B4: 7E2802FF FFFF0000
	v_mov_b32_e32 v21, 0x7fff0000                              // 0000000062BC: 7E2A02FF 7FFF0000
	v_mov_b32_e32 v22, 0x7fff                                  // 0000000062C4: 7E2C02FF 00007FFF
	v_add_u32_e32 v1, s56, v1                                  // 0000000062CC: 68020238
	v_and_b32_e32 v10, 15, v0                                  // 0000000062D0: 2614008F
	v_lshlrev_b32_e32 v10, 2, v10                              // 0000000062D4: 24141482
	v_lshlrev_b32_e32 v11, 2, v0                               // 0000000062D8: 24160082
	s_mul_i32 s60, 0x100, s7                                   // 0000000062DC: 923C07FF 00000100
	v_add_u32_e32 v11, s60, v11                                // 0000000062E4: 6816163C
	v_lshrrev_b32_e32 v39, 4, v0                               // 0000000062E8: 204E0084
	v_lshlrev_b32_e32 v40, 6, v39                              // 0000000062EC: 24504E86
	v_and_b32_e32 v39, 15, v0                                  // 0000000062F0: 264E008F
	v_lshlrev_b32_e32 v39, 1, v39                              // 0000000062F4: 244E4E81
	v_add_u32_e32 v40, v39, v40                                // 0000000062F8: 68505127
	v_lshlrev_b32_e32 v12, 2, v40                              // 0000000062FC: 24185082
	v_lshlrev_b32_e32 v39, 3, v0                               // 000000006300: 244E0083
	s_mul_i32 s60, 0x200, s7                                   // 000000006304: 923C07FF 00000200
	v_add_u32_e64 v13, v39, s60                                // 00000000630C: D134000D 00007927
	v_lshlrev_b32_e32 v6, 4, v0                                // 000000006314: 240C0084
	s_mul_i32 s60, s2, s69                                     // 000000006318: 923C4502
	s_add_u32 s16, s60, s16                                    // 00000000631C: 8010103C
	s_addc_u32 s17, 0, s17                                     // 000000006320: 82111180
	v_and_b32_e32 v39, 15, v0                                  // 000000006324: 264E008F
	v_lshlrev_b32_e32 v7, 4, v39                               // 000000006328: 240E4E84
	v_and_b32_e32 v39, 31, v0                                  // 00000000632C: 264E009F
	v_lshrrev_b32_e32 v39, 4, v39                              // 000000006330: 204E4E84
	v_mul_i32_i24_e32 v39, 0x800, v39                          // 000000006334: 0C4E4EFF 00000800
	v_add_u32_e32 v7, v39, v7                                  // 00000000633C: 680E0F27
	s_mul_i32 s61, s2, s69                                     // 000000006340: 923D4502
	s_mul_i32 s60, s7, 0x100                                   // 000000006344: 923CFF07 00000100
	s_add_u32 s60, s60, s61                                    // 00000000634C: 803C3D3C
	s_add_u32 s20, s60, s20                                    // 000000006350: 8014143C
	s_addc_u32 s21, 0, s21                                     // 000000006354: 82151580
	s_waitcnt vmcnt(4)                                         // 000000006358: BF8C0F74
	v_mul_u32_u24_dpp v39, v17, v54 row_newbcast:0 row_mask:0xf bank_mask:0xf// 00000000635C: 104E6CFA FF015011
	v_mul_u32_u24_dpp v40, v17, v54 row_newbcast:4 row_mask:0xf bank_mask:0xf// 000000006364: 10506CFA FF015411
	v_mul_u32_u24_dpp v41, v17, v54 row_newbcast:8 row_mask:0xf bank_mask:0xf// 00000000636C: 10526CFA FF015811
	v_mul_u32_u24_dpp v42, v17, v54 row_newbcast:12 row_mask:0xf bank_mask:0xf// 000000006374: 10546CFA FF015C11
	v_add_u32_e32 v23, v39, v6                                 // 00000000637C: 682E0D27
	v_add_u32_e32 v24, v40, v6                                 // 000000006380: 68300D28
	v_add_u32_e32 v25, v41, v6                                 // 000000006384: 68320D29
	v_add_u32_e32 v26, v42, v6                                 // 000000006388: 68340D2A
	v_mul_u32_u24_dpp v39, v17, v54 row_newbcast:1 row_mask:0xf bank_mask:0xf// 00000000638C: 104E6CFA FF015111
	v_mul_u32_u24_dpp v40, v17, v54 row_newbcast:2 row_mask:0xf bank_mask:0xf// 000000006394: 10506CFA FF015211
	v_mul_u32_u24_dpp v41, v17, v54 row_newbcast:5 row_mask:0xf bank_mask:0xf// 00000000639C: 10526CFA FF015511
	v_mul_u32_u24_dpp v42, v17, v54 row_newbcast:6 row_mask:0xf bank_mask:0xf// 0000000063A4: 10546CFA FF015611
	v_add_u32_e32 v192, v39, v7                                // 0000000063AC: 69800F27
	v_add_u32_e32 v193, v40, v7                                // 0000000063B0: 69820F28
	v_add_u32_e32 v194, v41, v7                                // 0000000063B4: 69840F29
	v_add_u32_e32 v195, v42, v7                                // 0000000063B8: 69860F2A
	v_mul_u32_u24_dpp v39, v17, v54 row_newbcast:9 row_mask:0xf bank_mask:0xf// 0000000063BC: 104E6CFA FF015911
	v_mul_u32_u24_dpp v40, v17, v54 row_newbcast:10 row_mask:0xf bank_mask:0xf// 0000000063C4: 10506CFA FF015A11
	v_mul_u32_u24_dpp v41, v17, v54 row_newbcast:13 row_mask:0xf bank_mask:0xf// 0000000063CC: 10526CFA FF015D11
	v_mul_u32_u24_dpp v42, v17, v54 row_newbcast:7 row_mask:0xf bank_mask:0xf// 0000000063D4: 10546CFA FF015711
	v_add_u32_e32 v196, v39, v7                                // 0000000063DC: 69880F27
	v_add_u32_e32 v197, v40, v7                                // 0000000063E0: 698A0F28
	v_add_u32_e32 v198, v41, v7                                // 0000000063E4: 698C0F29
	v_add_u32_e32 v199, v42, v7                                // 0000000063E8: 698E0F2A
	buffer_load_dwordx4 a[0:3], v23, s[16:19], 0 offen         // 0000000063EC: E05C1000 80840017
	buffer_load_dwordx4 a[4:7], v23, s[16:19], 0 offen offset:1024// 0000000063F4: E05C1400 80840417
	buffer_load_dwordx4 a[8:11], v23, s[16:19], 0 offen offset:2048// 0000000063FC: E05C1800 80840817
	buffer_load_dwordx4 a[12:15], v23, s[16:19], 0 offen offset:3072// 000000006404: E05C1C00 80840C17
	buffer_load_dwordx4 a[16:19], v24, s[16:19], 0 offen       // 00000000640C: E05C1000 80841018
	buffer_load_dwordx4 a[20:23], v24, s[16:19], 0 offen offset:1024// 000000006414: E05C1400 80841418
	buffer_load_dwordx4 a[24:27], v24, s[16:19], 0 offen offset:2048// 00000000641C: E05C1800 80841818
	buffer_load_dwordx4 a[28:31], v24, s[16:19], 0 offen offset:3072// 000000006424: E05C1C00 80841C18
	buffer_load_dwordx4 a[32:35], v25, s[16:19], 0 offen       // 00000000642C: E05C1000 80842019
	buffer_load_dwordx4 a[36:39], v25, s[16:19], 0 offen offset:1024// 000000006434: E05C1400 80842419
	buffer_load_dwordx4 a[40:43], v25, s[16:19], 0 offen offset:2048// 00000000643C: E05C1800 80842819
	buffer_load_dwordx4 a[44:47], v25, s[16:19], 0 offen offset:3072// 000000006444: E05C1C00 80842C19
	buffer_load_dwordx4 a[48:51], v26, s[16:19], 0 offen       // 00000000644C: E05C1000 8084301A
	buffer_load_dwordx4 a[52:55], v26, s[16:19], 0 offen offset:1024// 000000006454: E05C1400 8084341A
	buffer_load_dwordx4 a[56:59], v26, s[16:19], 0 offen offset:2048// 00000000645C: E05C1800 8084381A
	buffer_load_dwordx4 a[60:63], v26, s[16:19], 0 offen offset:3072// 000000006464: E05C1C00 80843C1A
	buffer_load_dwordx4 a[128:131], v192, s[20:23], 0 offen    // 00000000646C: E05C1000 808580C0
	buffer_load_dwordx4 a[132:135], v193, s[20:23], 0 offen    // 000000006474: E05C1000 808584C1
	buffer_load_dwordx4 a[136:139], v194, s[20:23], 0 offen    // 00000000647C: E05C1000 808588C2
	buffer_load_dwordx4 a[140:143], v195, s[20:23], 0 offen    // 000000006484: E05C1000 80858CC3
	buffer_load_dwordx4 a[144:147], v196, s[20:23], 0 offen    // 00000000648C: E05C1000 808590C4
	buffer_load_dwordx4 a[148:151], v197, s[20:23], 0 offen    // 000000006494: E05C1000 808594C5
	buffer_load_dwordx4 a[152:155], v198, s[20:23], 0 offen    // 00000000649C: E05C1000 808598C6
	buffer_load_dwordx4 a[156:159], v199, s[20:23], 0 offen    // 0000000064A4: E05C1000 80859CC7
	buffer_load_dwordx4 a[160:163], v192, s[20:23], 0 offen offset:1024// 0000000064AC: E05C1400 8085A0C0
	buffer_load_dwordx4 a[164:167], v193, s[20:23], 0 offen offset:1024// 0000000064B4: E05C1400 8085A4C1
	buffer_load_dwordx4 a[168:171], v194, s[20:23], 0 offen offset:1024// 0000000064BC: E05C1400 8085A8C2
	buffer_load_dwordx4 a[172:175], v195, s[20:23], 0 offen offset:1024// 0000000064C4: E05C1400 8085ACC3
	buffer_load_dwordx4 a[176:179], v196, s[20:23], 0 offen offset:1024// 0000000064CC: E05C1400 8085B0C4
	buffer_load_dwordx4 a[180:183], v197, s[20:23], 0 offen offset:1024// 0000000064D4: E05C1400 8085B4C5
	buffer_load_dwordx4 a[184:187], v198, s[20:23], 0 offen offset:1024// 0000000064DC: E05C1400 8085B8C6
	buffer_load_dwordx4 a[188:191], v199, s[20:23], 0 offen offset:1024// 0000000064E4: E05C1400 8085BCC7
	v_lshrrev_b32_e32 v39, 4, v0                               // 0000000064EC: 204E0084
	v_lshlrev_b32_e32 v40, 2, v39                              // 0000000064F0: 24504E82
	v_and_b32_e32 v39, 15, v0                                  // 0000000064F4: 264E008F
	v_lshrrev_b32_e32 v41, 2, v39                              // 0000000064F8: 20524E82
	v_lshlrev_b32_e32 v41, 6, v41                              // 0000000064FC: 24525286
	v_add_u32_e32 v40, v41, v40                                // 000000006500: 68505129
	v_and_b32_e32 v39, 3, v0                                   // 000000006504: 264E0083
	v_mul_i32_i24_e32 v41, 0x108, v39                          // 000000006508: 0C524EFF 00000108
	v_add_u32_e32 v40, v41, v40                                // 000000006510: 68505129
	v_lshlrev_b32_e32 v4, 2, v40                               // 000000006514: 24085082
	s_waitcnt vmcnt(32) lgkmcnt(0)                             // 000000006518: BF8C8070
	s_barrier                                                  // 00000000651C: BF8A0000
	ds_read_b128 v[80:83], v4                                  // 000000006520: D9FE0000 50000004
	ds_read_b128 v[84:87], v4 offset:64                        // 000000006528: D9FE0040 54000004
	ds_read_b128 v[88:91], v4 offset:128                       // 000000006530: D9FE0080 58000004
	ds_read_b128 v[92:95], v4 offset:192                       // 000000006538: D9FE00C0 5C000004
	v_mov_b32_e32 v176, 0                                      // 000000006540: 7F600280
	v_mov_b32_e32 v177, 0                                      // 000000006544: 7F620280
	v_mov_b32_e32 v178, 0                                      // 000000006548: 7F640280
	v_mov_b32_e32 v179, 0                                      // 00000000654C: 7F660280
	v_mov_b32_e32 v180, 0                                      // 000000006550: 7F680280
	v_mov_b32_e32 v181, 0                                      // 000000006554: 7F6A0280
	v_mov_b32_e32 v182, 0                                      // 000000006558: 7F6C0280
	v_mov_b32_e32 v183, 0                                      // 00000000655C: 7F6E0280
	s_waitcnt vmcnt(16) lgkmcnt(0)                             // 000000006560: BF8C4070
	s_barrier                                                  // 000000006564: BF8A0000
	v_mul_u32_u24_dpp v39, v18, v54 row_newbcast:0 row_mask:0xf bank_mask:0xf// 000000006568: 104E6CFA FF015012
	v_mul_u32_u24_dpp v40, v18, v54 row_newbcast:4 row_mask:0xf bank_mask:0xf// 000000006570: 10506CFA FF015412
	v_mul_u32_u24_dpp v41, v18, v54 row_newbcast:8 row_mask:0xf bank_mask:0xf// 000000006578: 10526CFA FF015812
	v_mul_u32_u24_dpp v42, v18, v54 row_newbcast:12 row_mask:0xf bank_mask:0xf// 000000006580: 10546CFA FF015C12
	v_add_u32_e32 v27, v39, v6                                 // 000000006588: 68360D27
	v_add_u32_e32 v28, v40, v6                                 // 00000000658C: 68380D28
	v_add_u32_e32 v29, v41, v6                                 // 000000006590: 683A0D29
	v_add_u32_e32 v30, v42, v6                                 // 000000006594: 683C0D2A
	v_mul_u32_u24_dpp v39, v18, v54 row_newbcast:1 row_mask:0xf bank_mask:0xf// 000000006598: 104E6CFA FF015112
	v_mul_u32_u24_dpp v40, v18, v54 row_newbcast:2 row_mask:0xf bank_mask:0xf// 0000000065A0: 10506CFA FF015212
	v_mul_u32_u24_dpp v41, v18, v54 row_newbcast:5 row_mask:0xf bank_mask:0xf// 0000000065A8: 10526CFA FF015512
	v_mul_u32_u24_dpp v42, v18, v54 row_newbcast:6 row_mask:0xf bank_mask:0xf// 0000000065B0: 10546CFA FF015612
	v_add_u32_e32 v200, v39, v7                                // 0000000065B8: 69900F27
	v_add_u32_e32 v201, v40, v7                                // 0000000065BC: 69920F28
	v_add_u32_e32 v202, v41, v7                                // 0000000065C0: 69940F29
	v_add_u32_e32 v203, v42, v7                                // 0000000065C4: 69960F2A
	v_mul_u32_u24_dpp v39, v18, v54 row_newbcast:9 row_mask:0xf bank_mask:0xf// 0000000065C8: 104E6CFA FF015912
	v_mul_u32_u24_dpp v40, v18, v54 row_newbcast:10 row_mask:0xf bank_mask:0xf// 0000000065D0: 10506CFA FF015A12
	v_mul_u32_u24_dpp v41, v18, v54 row_newbcast:13 row_mask:0xf bank_mask:0xf// 0000000065D8: 10526CFA FF015D12
	v_mul_u32_u24_dpp v42, v18, v54 row_newbcast:7 row_mask:0xf bank_mask:0xf// 0000000065E0: 10546CFA FF015712
	v_add_u32_e32 v204, v39, v7                                // 0000000065E8: 69980F27
	v_add_u32_e32 v205, v40, v7                                // 0000000065EC: 699A0F28
	v_add_u32_e32 v206, v41, v7                                // 0000000065F0: 699C0F29
	v_add_u32_e32 v207, v42, v7                                // 0000000065F4: 699E0F2A
	s_cmp_lt_u32 s73, 16                                       // 0000000065F8: BF0A9049
	s_cbranch_scc1 label_1B83                                  // 0000000065FC: BF850A82
	s_cmp_lt_i32 s7, 2                                         // 000000006600: BF048207
	s_cbranch_scc0 label_1643                                  // 000000006604: BF840540

0000000000006608 <label_1103>:
	s_waitcnt vmcnt(16) lgkmcnt(0)                             // 000000006608: BF8C4070
	v_mfma_f32_16x16x16_bf16 v[112:115], a[0:1], v[80:81], 0   // 00000000660C: D3E10070 0A02A100
	v_mfma_f32_16x16x16_bf16 v[112:115], a[2:3], v[82:83], v[112:115]// 000000006614: D3E10070 0DC2A502
	buffer_load_dwordx4 a[64:67], v27, s[16:19], 0 offen       // 00000000661C: E05C1000 8084401B
	v_mfma_f32_16x16x16_bf16 v[112:115], a[4:5], v[84:85], v[112:115]// 000000006624: D3E10070 0DC2A904
	v_mfma_f32_16x16x16_bf16 v[112:115], a[6:7], v[86:87], v[112:115]// 00000000662C: D3E10070 0DC2AD06
	buffer_load_dword v17, v1, s[24:27], 0 offen               // 000000006634: E0501000 80061101
	v_mfma_f32_16x16x16_bf16 v[112:115], a[8:9], v[88:89], v[112:115]// 00000000663C: D3E10070 0DC2B108
	v_mfma_f32_16x16x16_bf16 v[112:115], a[10:11], v[90:91], v[112:115]// 000000006644: D3E10070 0DC2B50A
	buffer_load_dwordx4 a[68:71], v27, s[16:19], 0 offen offset:1024// 00000000664C: E05C1400 8084441B
	v_mfma_f32_16x16x16_bf16 v[112:115], a[12:13], v[92:93], v[112:115]// 000000006654: D3E10070 0DC2B90C
	v_mfma_f32_16x16x16_bf16 v[112:115], a[14:15], v[94:95], v[112:115]// 00000000665C: D3E10070 0DC2BD0E
	v_mfma_f32_16x16x16_bf16 v[116:119], a[16:17], v[80:81], 0 // 000000006664: D3E10074 0A02A110
	v_mfma_f32_16x16x16_bf16 v[116:119], a[18:19], v[82:83], v[116:119]// 00000000666C: D3E10074 0DD2A512
	buffer_load_dwordx4 a[72:75], v27, s[16:19], 0 offen offset:2048// 000000006674: E05C1800 8084481B
	v_mfma_f32_16x16x16_bf16 v[116:119], a[20:21], v[84:85], v[116:119]// 00000000667C: D3E10074 0DD2A914
	v_mfma_f32_16x16x16_bf16 v[116:119], a[22:23], v[86:87], v[116:119]// 000000006684: D3E10074 0DD2AD16
	v_mfma_f32_16x16x16_bf16 v[116:119], a[24:25], v[88:89], v[116:119]// 00000000668C: D3E10074 0DD2B118
	v_mfma_f32_16x16x16_bf16 v[116:119], a[26:27], v[90:91], v[116:119]// 000000006694: D3E10074 0DD2B51A
	buffer_load_dwordx4 a[76:79], v27, s[16:19], 0 offen offset:3072// 00000000669C: E05C1C00 80844C1B
	v_mfma_f32_16x16x16_bf16 v[116:119], a[28:29], v[92:93], v[116:119]// 0000000066A4: D3E10074 0DD2B91C
	v_mfma_f32_16x16x16_bf16 v[116:119], a[30:31], v[94:95], v[116:119]// 0000000066AC: D3E10074 0DD2BD1E
	v_mfma_f32_16x16x16_bf16 v[120:123], a[32:33], v[80:81], 0 // 0000000066B4: D3E10078 0A02A120
	v_mfma_f32_16x16x16_bf16 v[120:123], a[34:35], v[82:83], v[120:123]// 0000000066BC: D3E10078 0DE2A522
	buffer_load_dwordx4 a[80:83], v28, s[16:19], 0 offen       // 0000000066C4: E05C1000 8084501C
	v_mfma_f32_16x16x16_bf16 v[120:123], a[36:37], v[84:85], v[120:123]// 0000000066CC: D3E10078 0DE2A924
	v_mfma_f32_16x16x16_bf16 v[120:123], a[38:39], v[86:87], v[120:123]// 0000000066D4: D3E10078 0DE2AD26
	v_mfma_f32_16x16x16_bf16 v[120:123], a[40:41], v[88:89], v[120:123]// 0000000066DC: D3E10078 0DE2B128
	v_mfma_f32_16x16x16_bf16 v[120:123], a[42:43], v[90:91], v[120:123]// 0000000066E4: D3E10078 0DE2B52A
	buffer_load_dwordx4 a[84:87], v28, s[16:19], 0 offen offset:1024// 0000000066EC: E05C1400 8084541C
	v_mfma_f32_16x16x16_bf16 v[120:123], a[44:45], v[92:93], v[120:123]// 0000000066F4: D3E10078 0DE2B92C
	v_mfma_f32_16x16x16_bf16 v[120:123], a[46:47], v[94:95], v[120:123]// 0000000066FC: D3E10078 0DE2BD2E
	v_mfma_f32_16x16x16_bf16 v[124:127], a[48:49], v[80:81], 0 // 000000006704: D3E1007C 0A02A130
	v_mfma_f32_16x16x16_bf16 v[124:127], a[50:51], v[82:83], v[124:127]// 00000000670C: D3E1007C 0DF2A532
	buffer_load_dwordx4 a[88:91], v28, s[16:19], 0 offen offset:2048// 000000006714: E05C1800 8084581C
	v_mfma_f32_16x16x16_bf16 v[124:127], a[52:53], v[84:85], v[124:127]// 00000000671C: D3E1007C 0DF2A934
	v_mfma_f32_16x16x16_bf16 v[124:127], a[54:55], v[86:87], v[124:127]// 000000006724: D3E1007C 0DF2AD36
	v_mfma_f32_16x16x16_bf16 v[124:127], a[56:57], v[88:89], v[124:127]// 00000000672C: D3E1007C 0DF2B138
	v_mfma_f32_16x16x16_bf16 v[124:127], a[58:59], v[90:91], v[124:127]// 000000006734: D3E1007C 0DF2B53A
	buffer_load_dwordx4 a[92:95], v28, s[16:19], 0 offen offset:3072// 00000000673C: E05C1C00 80845C1C
	v_mfma_f32_16x16x16_bf16 v[124:127], a[60:61], v[92:93], v[124:127]// 000000006744: D3E1007C 0DF2B93C
	v_mfma_f32_16x16x16_bf16 v[124:127], a[62:63], v[94:95], v[124:127]// 00000000674C: D3E1007C 0DF2BD3E
	s_cmp_le_i32 s90, s89                                      // 000000006754: BF05595A
	s_cbranch_scc1 label_11CB                                  // 000000006758: BF850073
	v_mov_b32_e32 v55, 0xff800000                              // 00000000675C: 7E6E02FF FF800000
	s_mov_b32 s60, s90                                         // 000000006764: BEBC005A
	s_add_u32 s61, s89, 0xff                                   // 000000006768: 803DFF59 000000FF
	v_mov_b32_e32 v39, s61                                     // 000000006770: 7E4E023D
	v_lshrrev_b32_e32 v31, 4, v0                               // 000000006774: 203E0084
	v_mul_i32_i24_e32 v31, 4, v31                              // 000000006778: 0C3E3E84
	v_add_u32_e32 v31, s60, v31                                // 00000000677C: 683E3E3C
	v_and_b32_e32 v40, 15, v0                                  // 000000006780: 2650008F
	v_lshrrev_b32_e32 v40, 3, v40                              // 000000006784: 20505083
	s_mov_b32 s61, 0                                           // 000000006788: BEBD0080
	s_mul_i32 s60, 16, s7                                      // 00000000678C: 923C0790
	v_add_u32_e32 v40, s61, v40                                // 000000006790: 6850503D
	v_sub_u32_e32 v31, v31, v40                                // 000000006794: 6A3E511F
	v_add_u32_e32 v31, s60, v31                                // 000000006798: 683E3E3C
	v_add_u32_e32 v32, 1, v31                                  // 00000000679C: 68403E81
	v_add_u32_e32 v33, 2, v31                                  // 0000000067A0: 68423E82
	v_add_u32_e32 v34, 3, v31                                  // 0000000067A4: 68443E83
	v_cmp_le_u32_e64 s[40:41], v31, v39                        // 0000000067A8: D0CB0028 00024F1F
	v_add_u32_e32 v31, 64, v31                                 // 0000000067B0: 683E3EC0
	s_nop 0                                                    // 0000000067B4: BF800000
	v_cndmask_b32_e64 v112, v55, v112, s[40:41]                // 0000000067B8: D1000070 00A2E137
	v_cmp_le_u32_e64 s[40:41], v32, v39                        // 0000000067C0: D0CB0028 00024F20
	v_add_u32_e32 v32, 64, v32                                 // 0000000067C8: 684040C0
	s_nop 0                                                    // 0000000067CC: BF800000
	v_cndmask_b32_e64 v113, v55, v113, s[40:41]                // 0000000067D0: D1000071 00A2E337
	v_cmp_le_u32_e64 s[40:41], v33, v39                        // 0000000067D8: D0CB0028 00024F21
	v_add_u32_e32 v33, 64, v33                                 // 0000000067E0: 684242C0
	s_nop 0                                                    // 0000000067E4: BF800000
	v_cndmask_b32_e64 v114, v55, v114, s[40:41]                // 0000000067E8: D1000072 00A2E537
	v_cmp_le_u32_e64 s[40:41], v34, v39                        // 0000000067F0: D0CB0028 00024F22
	v_add_u32_e32 v34, 64, v34                                 // 0000000067F8: 684444C0
	s_nop 0                                                    // 0000000067FC: BF800000
	v_cndmask_b32_e64 v115, v55, v115, s[40:41]                // 000000006800: D1000073 00A2E737
	v_cmp_le_u32_e64 s[40:41], v31, v39                        // 000000006808: D0CB0028 00024F1F
	v_add_u32_e32 v31, 64, v31                                 // 000000006810: 683E3EC0
	s_nop 0                                                    // 000000006814: BF800000
	v_cndmask_b32_e64 v116, v55, v116, s[40:41]                // 000000006818: D1000074 00A2E937
	v_cmp_le_u32_e64 s[40:41], v32, v39                        // 000000006820: D0CB0028 00024F20
	v_add_u32_e32 v32, 64, v32                                 // 000000006828: 684040C0
	s_nop 0                                                    // 00000000682C: BF800000
	v_cndmask_b32_e64 v117, v55, v117, s[40:41]                // 000000006830: D1000075 00A2EB37
	v_cmp_le_u32_e64 s[40:41], v33, v39                        // 000000006838: D0CB0028 00024F21
	v_add_u32_e32 v33, 64, v33                                 // 000000006840: 684242C0
	s_nop 0                                                    // 000000006844: BF800000
	v_cndmask_b32_e64 v118, v55, v118, s[40:41]                // 000000006848: D1000076 00A2ED37
	v_cmp_le_u32_e64 s[40:41], v34, v39                        // 000000006850: D0CB0028 00024F22
	v_add_u32_e32 v34, 64, v34                                 // 000000006858: 684444C0
	s_nop 0                                                    // 00000000685C: BF800000
	v_cndmask_b32_e64 v119, v55, v119, s[40:41]                // 000000006860: D1000077 00A2EF37
	v_cmp_le_u32_e64 s[40:41], v31, v39                        // 000000006868: D0CB0028 00024F1F
	v_add_u32_e32 v31, 64, v31                                 // 000000006870: 683E3EC0
	s_nop 0                                                    // 000000006874: BF800000
	v_cndmask_b32_e64 v120, v55, v120, s[40:41]                // 000000006878: D1000078 00A2F137
	v_cmp_le_u32_e64 s[40:41], v32, v39                        // 000000006880: D0CB0028 00024F20
	v_add_u32_e32 v32, 64, v32                                 // 000000006888: 684040C0
	s_nop 0                                                    // 00000000688C: BF800000
	v_cndmask_b32_e64 v121, v55, v121, s[40:41]                // 000000006890: D1000079 00A2F337
	v_cmp_le_u32_e64 s[40:41], v33, v39                        // 000000006898: D0CB0028 00024F21
	v_add_u32_e32 v33, 64, v33                                 // 0000000068A0: 684242C0
	s_nop 0                                                    // 0000000068A4: BF800000
	v_cndmask_b32_e64 v122, v55, v122, s[40:41]                // 0000000068A8: D100007A 00A2F537
	v_cmp_le_u32_e64 s[40:41], v34, v39                        // 0000000068B0: D0CB0028 00024F22
	v_add_u32_e32 v34, 64, v34                                 // 0000000068B8: 684444C0
	s_nop 0                                                    // 0000000068BC: BF800000
	v_cndmask_b32_e64 v123, v55, v123, s[40:41]                // 0000000068C0: D100007B 00A2F737
	v_cmp_le_u32_e64 s[40:41], v31, v39                        // 0000000068C8: D0CB0028 00024F1F
	v_add_u32_e32 v31, 64, v31                                 // 0000000068D0: 683E3EC0
	s_nop 0                                                    // 0000000068D4: BF800000
	v_cndmask_b32_e64 v124, v55, v124, s[40:41]                // 0000000068D8: D100007C 00A2F937
	v_cmp_le_u32_e64 s[40:41], v32, v39                        // 0000000068E0: D0CB0028 00024F20
	v_add_u32_e32 v32, 64, v32                                 // 0000000068E8: 684040C0
	s_nop 0                                                    // 0000000068EC: BF800000
	v_cndmask_b32_e64 v125, v55, v125, s[40:41]                // 0000000068F0: D100007D 00A2FB37
	v_cmp_le_u32_e64 s[40:41], v33, v39                        // 0000000068F8: D0CB0028 00024F21
	v_add_u32_e32 v33, 64, v33                                 // 000000006900: 684242C0
	s_nop 0                                                    // 000000006904: BF800000
	v_cndmask_b32_e64 v126, v55, v126, s[40:41]                // 000000006908: D100007E 00A2FD37
	v_cmp_le_u32_e64 s[40:41], v34, v39                        // 000000006910: D0CB0028 00024F22
	v_add_u32_e32 v34, 64, v34                                 // 000000006918: 684444C0
	s_nop 0                                                    // 00000000691C: BF800000
	v_cndmask_b32_e64 v127, v55, v127, s[40:41]                // 000000006920: D100007F 00A2FF37

0000000000006928 <label_11CB>:
	s_add_u32 s90, s91, s90                                    // 000000006928: 805A5A5B
	s_nop 0                                                    // 00000000692C: BF800000
	buffer_load_dwordx4 a[96:99], v29, s[16:19], 0 offen       // 000000006930: E05C1000 8084601D
	s_nop 8                                                    // 000000006938: BF800008
	buffer_load_dwordx4 a[100:103], v29, s[16:19], 0 offen offset:1024// 00000000693C: E05C1400 8084641D
	v_mov_b32_e32 v50, v112                                    // 000000006944: 7E640370
	v_max3_f32 v50, v112, v113, v50                            // 000000006948: D1D30032 04CAE370
	v_max3_f32 v50, v114, v115, v50                            // 000000006950: D1D30032 04CAE772
	v_max3_f32 v50, v116, v117, v50                            // 000000006958: D1D30032 04CAEB74
	v_max3_f32 v50, v118, v119, v50                            // 000000006960: D1D30032 04CAEF76
	v_max3_f32 v50, v120, v121, v50                            // 000000006968: D1D30032 04CAF378
	v_max3_f32 v50, v122, v123, v50                            // 000000006970: D1D30032 04CAF77A
	v_max3_f32 v50, v124, v125, v50                            // 000000006978: D1D30032 04CAFB7C
	v_max3_f32 v50, v126, v127, v50                            // 000000006980: D1D30032 04CAFF7E
	ds_write_b32 v11, v50                                      // 000000006988: D81A0000 0000320B
	buffer_load_dwordx4 a[104:107], v29, s[16:19], 0 offen offset:2048// 000000006990: E05C1800 8084681D
	s_waitcnt lgkmcnt(0)                                       // 000000006998: BF8CC07F
	s_barrier                                                  // 00000000699C: BF8A0000
	ds_read_b32 v64, v10                                       // 0000000069A0: D86C0000 4000000A
	buffer_load_dwordx4 a[108:111], v29, s[16:19], 0 offen offset:3072// 0000000069A8: E05C1C00 80846C1D
	ds_read_b32 v65, v10 offset:64                             // 0000000069B0: D86C0040 4100000A
	ds_read_b32 v66, v10 offset:128                            // 0000000069B8: D86C0080 4200000A
	ds_read_b32 v67, v10 offset:192                            // 0000000069C0: D86C00C0 4300000A
	ds_read_b32 v68, v10 offset:256                            // 0000000069C8: D86C0100 4400000A
	ds_read_b32 v69, v10 offset:320                            // 0000000069D0: D86C0140 4500000A
	ds_read_b32 v70, v10 offset:384                            // 0000000069D8: D86C0180 4600000A
	ds_read_b32 v71, v10 offset:448                            // 0000000069E0: D86C01C0 4700000A
	ds_read_b32 v72, v10 offset:512                            // 0000000069E8: D86C0200 4800000A
	buffer_load_dwordx4 a[112:115], v30, s[16:19], 0 offen     // 0000000069F0: E05C1000 8084701E
	ds_read_b32 v73, v10 offset:576                            // 0000000069F8: D86C0240 4900000A
	ds_read_b32 v74, v10 offset:640                            // 000000006A00: D86C0280 4A00000A
	ds_read_b32 v75, v10 offset:704                            // 000000006A08: D86C02C0 4B00000A
	ds_read_b32 v76, v10 offset:768                            // 000000006A10: D86C0300 4C00000A
	ds_read_b32 v77, v10 offset:832                            // 000000006A18: D86C0340 4D00000A
	ds_read_b32 v78, v10 offset:896                            // 000000006A20: D86C0380 4E00000A
	ds_read_b32 v79, v10 offset:960                            // 000000006A28: D86C03C0 4F00000A
	buffer_load_dwordx4 a[116:119], v30, s[16:19], 0 offen offset:1024// 000000006A30: E05C1400 8084741E
	buffer_load_dwordx4 a[120:123], v30, s[16:19], 0 offen offset:2048// 000000006A38: E05C1800 8084781E
	s_waitcnt lgkmcnt(0)                                       // 000000006A40: BF8CC07F
	v_max3_f32 v50, v64, v65, v50                              // 000000006A44: D1D30032 04CA8340
	v_max3_f32 v50, v66, v67, v50                              // 000000006A4C: D1D30032 04CA8742
	v_max3_f32 v50, v68, v69, v50                              // 000000006A54: D1D30032 04CA8B44
	v_max3_f32 v50, v70, v71, v50                              // 000000006A5C: D1D30032 04CA8F46
	v_max3_f32 v50, v72, v73, v50                              // 000000006A64: D1D30032 04CA9348
	v_max3_f32 v50, v74, v75, v50                              // 000000006A6C: D1D30032 04CA974A
	v_max3_f32 v50, v76, v77, v50                              // 000000006A74: D1D30032 04CA9B4C
	v_max3_f32 v50, v78, v79, v50                              // 000000006A7C: D1D30032 04CA9F4E
	buffer_load_dwordx4 a[124:127], v30, s[16:19], 0 offen offset:3072// 000000006A84: E05C1C00 80847C1E
	v_cmp_eq_u32_e64 s[40:41], v55, v14                        // 000000006A8C: D0CA0028 00021D37
	s_nop 1                                                    // 000000006A94: BF800001
	v_max_f32_e32 v16, v50, v14                                // 000000006A98: 16201D32
	v_sub_f32_e32 v51, v14, v16                                // 000000006A9C: 0466210E
	v_cndmask_b32_e64 v51, v51, 0, s[40:41]                    // 000000006AA0: D1000033 00A10133
	v_mov_b32_e32 v14, v16                                     // 000000006AA8: 7E1C0310
	v_mul_f32_e32 v53, s64, v16                                // 000000006AAC: 0A6A2040
	v_mul_f32_e32 v51, s64, v51                                // 000000006AB0: 0A666640
	v_exp_f32_e32 v51, v51                                     // 000000006AB4: 7E664133
	buffer_load_dwordx4 a[192:195], v200, s[20:23], 0 offen    // 000000006AB8: E05C1000 8085C0C8
	v_fma_f32 v112, v112, s64, -v53                            // 000000006AC0: D1CB0070 84D48170
	v_fma_f32 v113, v113, s64, -v53                            // 000000006AC8: D1CB0071 84D48171
	v_fma_f32 v114, v114, s64, -v53                            // 000000006AD0: D1CB0072 84D48172
	v_fma_f32 v115, v115, s64, -v53                            // 000000006AD8: D1CB0073 84D48173
	v_fma_f32 v116, v116, s64, -v53                            // 000000006AE0: D1CB0074 84D48174
	v_fma_f32 v117, v117, s64, -v53                            // 000000006AE8: D1CB0075 84D48175
	v_fma_f32 v118, v118, s64, -v53                            // 000000006AF0: D1CB0076 84D48176
	v_fma_f32 v119, v119, s64, -v53                            // 000000006AF8: D1CB0077 84D48177
	v_fma_f32 v120, v120, s64, -v53                            // 000000006B00: D1CB0078 84D48178
	v_fma_f32 v121, v121, s64, -v53                            // 000000006B08: D1CB0079 84D48179
	v_fma_f32 v122, v122, s64, -v53                            // 000000006B10: D1CB007A 84D4817A
	v_fma_f32 v123, v123, s64, -v53                            // 000000006B18: D1CB007B 84D4817B
	v_fma_f32 v124, v124, s64, -v53                            // 000000006B20: D1CB007C 84D4817C
	v_fma_f32 v125, v125, s64, -v53                            // 000000006B28: D1CB007D 84D4817D
	v_fma_f32 v126, v126, s64, -v53                            // 000000006B30: D1CB007E 84D4817E
	v_fma_f32 v127, v127, s64, -v53                            // 000000006B38: D1CB007F 84D4817F
	v_exp_f32_e32 v112, v112                                   // 000000006B40: 7EE04170
	v_exp_f32_e32 v113, v113                                   // 000000006B44: 7EE24171
	v_exp_f32_e32 v114, v114                                   // 000000006B48: 7EE44172
	v_exp_f32_e32 v115, v115                                   // 000000006B4C: 7EE64173
	v_exp_f32_e32 v116, v116                                   // 000000006B50: 7EE84174
	v_exp_f32_e32 v117, v117                                   // 000000006B54: 7EEA4175
	v_exp_f32_e32 v118, v118                                   // 000000006B58: 7EEC4176
	v_exp_f32_e32 v119, v119                                   // 000000006B5C: 7EEE4177
	v_exp_f32_e32 v120, v120                                   // 000000006B60: 7EF04178
	v_exp_f32_e32 v121, v121                                   // 000000006B64: 7EF24179
	v_exp_f32_e32 v122, v122                                   // 000000006B68: 7EF4417A
	v_exp_f32_e32 v123, v123                                   // 000000006B6C: 7EF6417B
	v_exp_f32_e32 v124, v124                                   // 000000006B70: 7EF8417C
	v_exp_f32_e32 v125, v125                                   // 000000006B74: 7EFA417D
	v_exp_f32_e32 v126, v126                                   // 000000006B78: 7EFC417E
	v_exp_f32_e32 v127, v127                                   // 000000006B7C: 7EFE417F
	buffer_load_dwordx4 a[196:199], v201, s[20:23], 0 offen    // 000000006B80: E05C1000 8085C4C9
	v_mul_f32_e32 v43, v51, v43                                // 000000006B88: 0A565733
	v_mov_b32_e32 v45, v112                                    // 000000006B8C: 7E5A0370
	v_add_f32_e32 v45, v113, v45                               // 000000006B90: 025A5B71
	v_add_f32_e32 v45, v114, v45                               // 000000006B94: 025A5B72
	v_add_f32_e32 v45, v115, v45                               // 000000006B98: 025A5B73
	v_add_f32_e32 v45, v116, v45                               // 000000006B9C: 025A5B74
	v_add_f32_e32 v45, v117, v45                               // 000000006BA0: 025A5B75
	v_add_f32_e32 v45, v118, v45                               // 000000006BA4: 025A5B76
	v_add_f32_e32 v45, v119, v45                               // 000000006BA8: 025A5B77
	v_add_f32_e32 v45, v120, v45                               // 000000006BAC: 025A5B78
	v_add_f32_e32 v45, v121, v45                               // 000000006BB0: 025A5B79
	v_add_f32_e32 v45, v122, v45                               // 000000006BB4: 025A5B7A
	v_add_f32_e32 v45, v123, v45                               // 000000006BB8: 025A5B7B
	v_add_f32_e32 v45, v124, v45                               // 000000006BBC: 025A5B7C
	v_add_f32_e32 v45, v125, v45                               // 000000006BC0: 025A5B7D
	v_add_f32_e32 v45, v126, v45                               // 000000006BC4: 025A5B7E
	v_add_f32_e32 v45, v127, v45                               // 000000006BC8: 025A5B7F
	v_add_f32_e32 v43, v45, v43                                // 000000006BCC: 0256572D
	buffer_load_dwordx4 a[200:203], v202, s[20:23], 0 offen    // 000000006BD0: E05C1000 8085C8CA
	v_cmp_u_f32_e64 s[40:41], v112, v112                       // 000000006BD8: D0480028 0002E170
	v_add3_u32 v19, v112, v22, 1                               // 000000006BE0: D1FF0013 02062D70
	v_cndmask_b32_e64 v39, v19, v21, s[40:41]                  // 000000006BE8: D1000027 00A22B13
	v_cmp_u_f32_e64 s[40:41], v113, v113                       // 000000006BF0: D0480028 0002E371
	v_add3_u32 v19, v113, v22, 1                               // 000000006BF8: D1FF0013 02062D71
	v_cndmask_b32_e64 v40, v19, v21, s[40:41]                  // 000000006C00: D1000028 00A22B13
	v_perm_b32 v112, v40, v39, s52                             // 000000006C08: D1ED0070 00D24F28
	v_cmp_u_f32_e64 s[40:41], v114, v114                       // 000000006C10: D0480028 0002E572
	v_add3_u32 v19, v114, v22, 1                               // 000000006C18: D1FF0013 02062D72
	v_cndmask_b32_e64 v39, v19, v21, s[40:41]                  // 000000006C20: D1000027 00A22B13
	v_cmp_u_f32_e64 s[40:41], v115, v115                       // 000000006C28: D0480028 0002E773
	v_add3_u32 v19, v115, v22, 1                               // 000000006C30: D1FF0013 02062D73
	v_cndmask_b32_e64 v40, v19, v21, s[40:41]                  // 000000006C38: D1000028 00A22B13
	v_perm_b32 v113, v40, v39, s52                             // 000000006C40: D1ED0071 00D24F28
	v_cmp_u_f32_e64 s[40:41], v116, v116                       // 000000006C48: D0480028 0002E974
	v_add3_u32 v19, v116, v22, 1                               // 000000006C50: D1FF0013 02062D74
	v_cndmask_b32_e64 v39, v19, v21, s[40:41]                  // 000000006C58: D1000027 00A22B13
	v_cmp_u_f32_e64 s[40:41], v117, v117                       // 000000006C60: D0480028 0002EB75
	v_add3_u32 v19, v117, v22, 1                               // 000000006C68: D1FF0013 02062D75
	v_cndmask_b32_e64 v40, v19, v21, s[40:41]                  // 000000006C70: D1000028 00A22B13
	v_perm_b32 v114, v40, v39, s52                             // 000000006C78: D1ED0072 00D24F28
	v_cmp_u_f32_e64 s[40:41], v118, v118                       // 000000006C80: D0480028 0002ED76
	v_add3_u32 v19, v118, v22, 1                               // 000000006C88: D1FF0013 02062D76
	v_cndmask_b32_e64 v39, v19, v21, s[40:41]                  // 000000006C90: D1000027 00A22B13
	v_cmp_u_f32_e64 s[40:41], v119, v119                       // 000000006C98: D0480028 0002EF77
	v_add3_u32 v19, v119, v22, 1                               // 000000006CA0: D1FF0013 02062D77
	v_cndmask_b32_e64 v40, v19, v21, s[40:41]                  // 000000006CA8: D1000028 00A22B13
	v_perm_b32 v115, v40, v39, s52                             // 000000006CB0: D1ED0073 00D24F28
	v_cmp_u_f32_e64 s[40:41], v120, v120                       // 000000006CB8: D0480028 0002F178
	v_add3_u32 v19, v120, v22, 1                               // 000000006CC0: D1FF0013 02062D78
	v_cndmask_b32_e64 v39, v19, v21, s[40:41]                  // 000000006CC8: D1000027 00A22B13
	v_cmp_u_f32_e64 s[40:41], v121, v121                       // 000000006CD0: D0480028 0002F379
	v_add3_u32 v19, v121, v22, 1                               // 000000006CD8: D1FF0013 02062D79
	v_cndmask_b32_e64 v40, v19, v21, s[40:41]                  // 000000006CE0: D1000028 00A22B13
	v_perm_b32 v116, v40, v39, s52                             // 000000006CE8: D1ED0074 00D24F28
	v_cmp_u_f32_e64 s[40:41], v122, v122                       // 000000006CF0: D0480028 0002F57A
	v_add3_u32 v19, v122, v22, 1                               // 000000006CF8: D1FF0013 02062D7A
	v_cndmask_b32_e64 v39, v19, v21, s[40:41]                  // 000000006D00: D1000027 00A22B13
	v_cmp_u_f32_e64 s[40:41], v123, v123                       // 000000006D08: D0480028 0002F77B
	v_add3_u32 v19, v123, v22, 1                               // 000000006D10: D1FF0013 02062D7B
	v_cndmask_b32_e64 v40, v19, v21, s[40:41]                  // 000000006D18: D1000028 00A22B13
	v_perm_b32 v117, v40, v39, s52                             // 000000006D20: D1ED0075 00D24F28
	v_cmp_u_f32_e64 s[40:41], v124, v124                       // 000000006D28: D0480028 0002F97C
	v_add3_u32 v19, v124, v22, 1                               // 000000006D30: D1FF0013 02062D7C
	v_cndmask_b32_e64 v39, v19, v21, s[40:41]                  // 000000006D38: D1000027 00A22B13
	v_cmp_u_f32_e64 s[40:41], v125, v125                       // 000000006D40: D0480028 0002FB7D
	v_add3_u32 v19, v125, v22, 1                               // 000000006D48: D1FF0013 02062D7D
	v_cndmask_b32_e64 v40, v19, v21, s[40:41]                  // 000000006D50: D1000028 00A22B13
	v_perm_b32 v118, v40, v39, s52                             // 000000006D58: D1ED0076 00D24F28
	v_cmp_u_f32_e64 s[40:41], v126, v126                       // 000000006D60: D0480028 0002FD7E
	v_add3_u32 v19, v126, v22, 1                               // 000000006D68: D1FF0013 02062D7E
	v_cndmask_b32_e64 v39, v19, v21, s[40:41]                  // 000000006D70: D1000027 00A22B13
	v_cmp_u_f32_e64 s[40:41], v127, v127                       // 000000006D78: D0480028 0002FF7F
	v_add3_u32 v19, v127, v22, 1                               // 000000006D80: D1FF0013 02062D7F
	v_cndmask_b32_e64 v40, v19, v21, s[40:41]                  // 000000006D88: D1000028 00A22B13
	v_perm_b32 v119, v40, v39, s52                             // 000000006D90: D1ED0077 00D24F28
	buffer_load_dwordx4 a[204:207], v203, s[20:23], 0 offen    // 000000006D98: E05C1000 8085CCCB
	buffer_load_dwordx4 a[208:211], v204, s[20:23], 0 offen    // 000000006DA0: E05C1000 8085D0CC
	ds_write_b64 v13, v[112:113] offset:4096                   // 000000006DA8: D89A1000 0000700D
	ds_write_b64 v13, v[114:115] offset:6144                   // 000000006DB0: D89A1800 0000720D
	ds_write_b64 v13, v[116:117] offset:8192                   // 000000006DB8: D89A2000 0000740D
	ds_write_b64 v13, v[118:119] offset:10240                  // 000000006DC0: D89A2800 0000760D
	buffer_load_dwordx4 a[212:215], v205, s[20:23], 0 offen    // 000000006DC8: E05C1000 8085D4CD
	s_waitcnt lgkmcnt(0)                                       // 000000006DD0: BF8CC07F
	s_barrier                                                  // 000000006DD4: BF8A0000
	ds_read_b64 v[112:113], v12 offset:4096                    // 000000006DD8: D8EC1000 7000000C
	ds_read_b64 v[114:115], v12 offset:4224                    // 000000006DE0: D8EC1080 7200000C
	ds_read_b64 v[116:117], v12 offset:5120                    // 000000006DE8: D8EC1400 7400000C
	ds_read_b64 v[118:119], v12 offset:5248                    // 000000006DF0: D8EC1480 7600000C
	ds_read_b64 v[120:121], v12 offset:6144                    // 000000006DF8: D8EC1800 7800000C
	ds_read_b64 v[122:123], v12 offset:6272                    // 000000006E00: D8EC1880 7A00000C
	ds_read_b64 v[124:125], v12 offset:7168                    // 000000006E08: D8EC1C00 7C00000C
	ds_read_b64 v[126:127], v12 offset:7296                    // 000000006E10: D8EC1C80 7E00000C
	ds_read_b64 v[128:129], v12 offset:8192                    // 000000006E18: D8EC2000 8000000C
	ds_read_b64 v[130:131], v12 offset:8320                    // 000000006E20: D8EC2080 8200000C
	ds_read_b64 v[132:133], v12 offset:9216                    // 000000006E28: D8EC2400 8400000C
	ds_read_b64 v[134:135], v12 offset:9344                    // 000000006E30: D8EC2480 8600000C
	ds_read_b64 v[136:137], v12 offset:10240                   // 000000006E38: D8EC2800 8800000C
	ds_read_b64 v[138:139], v12 offset:10368                   // 000000006E40: D8EC2880 8A00000C
	ds_read_b64 v[140:141], v12 offset:11264                   // 000000006E48: D8EC2C00 8C00000C
	ds_read_b64 v[142:143], v12 offset:11392                   // 000000006E50: D8EC2C80 8E00000C
	buffer_load_dwordx4 a[216:219], v206, s[20:23], 0 offen    // 000000006E58: E05C1000 8085D8CE
	buffer_load_dwordx4 a[220:223], v207, s[20:23], 0 offen    // 000000006E60: E05C1000 8085DCCF
	s_waitcnt lgkmcnt(0)                                       // 000000006E68: BF8CC07F
	v_mul_f32_e32 v176, v51, v176                              // 000000006E6C: 0B616133
	v_mul_f32_e32 v177, v51, v177                              // 000000006E70: 0B636333
	v_mul_f32_e32 v178, v51, v178                              // 000000006E74: 0B656533
	v_mul_f32_e32 v179, v51, v179                              // 000000006E78: 0B676733
	v_mul_f32_e32 v180, v51, v180                              // 000000006E7C: 0B696933
	v_mul_f32_e32 v181, v51, v181                              // 000000006E80: 0B6B6B33
	v_mul_f32_e32 v182, v51, v182                              // 000000006E84: 0B6D6D33
	v_mul_f32_e32 v183, v51, v183                              // 000000006E88: 0B6F6F33
	s_waitcnt vmcnt(24)                                        // 000000006E8C: BF8C4F78
	v_mfma_f32_16x16x16_bf16 v[176:179], a[128:129], v[112:113], v[176:179]// 000000006E90: D3E100B0 0EC2E180
	v_mfma_f32_16x16x16_bf16 v[176:179], a[130:131], v[114:115], v[176:179]// 000000006E98: D3E100B0 0EC2E582
	buffer_load_dwordx4 a[224:227], v200, s[20:23], 0 offen offset:1024// 000000006EA0: E05C1400 8085E0C8
	v_mfma_f32_16x16x16_bf16 v[176:179], a[132:133], v[116:117], v[176:179]// 000000006EA8: D3E100B0 0EC2E984
	v_mfma_f32_16x16x16_bf16 v[176:179], a[134:135], v[118:119], v[176:179]// 000000006EB0: D3E100B0 0EC2ED86
	v_mfma_f32_16x16x16_bf16 v[176:179], a[136:137], v[120:121], v[176:179]// 000000006EB8: D3E100B0 0EC2F188
	v_mfma_f32_16x16x16_bf16 v[176:179], a[138:139], v[122:123], v[176:179]// 000000006EC0: D3E100B0 0EC2F58A
	buffer_load_dwordx4 a[228:231], v201, s[20:23], 0 offen offset:1024// 000000006EC8: E05C1400 8085E4C9
	v_mfma_f32_16x16x16_bf16 v[176:179], a[140:141], v[124:125], v[176:179]// 000000006ED0: D3E100B0 0EC2F98C
	v_mfma_f32_16x16x16_bf16 v[176:179], a[142:143], v[126:127], v[176:179]// 000000006ED8: D3E100B0 0EC2FD8E
	v_mfma_f32_16x16x16_bf16 v[176:179], a[144:145], v[128:129], v[176:179]// 000000006EE0: D3E100B0 0EC30190
	v_mfma_f32_16x16x16_bf16 v[176:179], a[146:147], v[130:131], v[176:179]// 000000006EE8: D3E100B0 0EC30592
	buffer_load_dwordx4 a[232:235], v202, s[20:23], 0 offen offset:1024// 000000006EF0: E05C1400 8085E8CA
	v_mfma_f32_16x16x16_bf16 v[176:179], a[148:149], v[132:133], v[176:179]// 000000006EF8: D3E100B0 0EC30994
	v_mfma_f32_16x16x16_bf16 v[176:179], a[150:151], v[134:135], v[176:179]// 000000006F00: D3E100B0 0EC30D96
	v_mfma_f32_16x16x16_bf16 v[176:179], a[152:153], v[136:137], v[176:179]// 000000006F08: D3E100B0 0EC31198
	v_mfma_f32_16x16x16_bf16 v[176:179], a[154:155], v[138:139], v[176:179]// 000000006F10: D3E100B0 0EC3159A
	buffer_load_dwordx4 a[236:239], v203, s[20:23], 0 offen offset:1024// 000000006F18: E05C1400 8085ECCB
	v_mfma_f32_16x16x16_bf16 v[176:179], a[156:157], v[140:141], v[176:179]// 000000006F20: D3E100B0 0EC3199C
	v_mfma_f32_16x16x16_bf16 v[176:179], a[158:159], v[142:143], v[176:179]// 000000006F28: D3E100B0 0EC31D9E
	v_mfma_f32_16x16x16_bf16 v[180:183], a[160:161], v[112:113], v[180:183]// 000000006F30: D3E100B4 0ED2E1A0
	v_mfma_f32_16x16x16_bf16 v[180:183], a[162:163], v[114:115], v[180:183]// 000000006F38: D3E100B4 0ED2E5A2
	buffer_load_dwordx4 a[240:243], v204, s[20:23], 0 offen offset:1024// 000000006F40: E05C1400 8085F0CC
	v_mfma_f32_16x16x16_bf16 v[180:183], a[164:165], v[116:117], v[180:183]// 000000006F48: D3E100B4 0ED2E9A4
	v_mfma_f32_16x16x16_bf16 v[180:183], a[166:167], v[118:119], v[180:183]// 000000006F50: D3E100B4 0ED2EDA6
	v_mfma_f32_16x16x16_bf16 v[180:183], a[168:169], v[120:121], v[180:183]// 000000006F58: D3E100B4 0ED2F1A8
	v_mfma_f32_16x16x16_bf16 v[180:183], a[170:171], v[122:123], v[180:183]// 000000006F60: D3E100B4 0ED2F5AA
	buffer_load_dwordx4 a[244:247], v205, s[20:23], 0 offen offset:1024// 000000006F68: E05C1400 8085F4CD
	v_mfma_f32_16x16x16_bf16 v[180:183], a[172:173], v[124:125], v[180:183]// 000000006F70: D3E100B4 0ED2F9AC
	v_mfma_f32_16x16x16_bf16 v[180:183], a[174:175], v[126:127], v[180:183]// 000000006F78: D3E100B4 0ED2FDAE
	v_mfma_f32_16x16x16_bf16 v[180:183], a[176:177], v[128:129], v[180:183]// 000000006F80: D3E100B4 0ED301B0
	v_mfma_f32_16x16x16_bf16 v[180:183], a[178:179], v[130:131], v[180:183]// 000000006F88: D3E100B4 0ED305B2
	buffer_load_dwordx4 a[248:251], v206, s[20:23], 0 offen offset:1024// 000000006F90: E05C1400 8085F8CE
	v_mfma_f32_16x16x16_bf16 v[180:183], a[180:181], v[132:133], v[180:183]// 000000006F98: D3E100B4 0ED309B4
	v_mfma_f32_16x16x16_bf16 v[180:183], a[182:183], v[134:135], v[180:183]// 000000006FA0: D3E100B4 0ED30DB6
	v_mfma_f32_16x16x16_bf16 v[180:183], a[184:185], v[136:137], v[180:183]// 000000006FA8: D3E100B4 0ED311B8
	v_mfma_f32_16x16x16_bf16 v[180:183], a[186:187], v[138:139], v[180:183]// 000000006FB0: D3E100B4 0ED315BA
	buffer_load_dwordx4 a[252:255], v207, s[20:23], 0 offen offset:1024// 000000006FB8: E05C1400 8085FCCF
	v_mfma_f32_16x16x16_bf16 v[180:183], a[188:189], v[140:141], v[180:183]// 000000006FC0: D3E100B4 0ED319BC
	v_mfma_f32_16x16x16_bf16 v[180:183], a[190:191], v[142:143], v[180:183]// 000000006FC8: D3E100B4 0ED31DBE
	s_lshr_b32 s60, s70, 4                                     // 000000006FD0: 8F3C8446
	s_add_u32 s60, 48, s60                                     // 000000006FD4: 803C3CB0
	s_cmp_ge_u32 s60, s73                                      // 000000006FD8: BF09493C
	s_cselect_b32 s56, 0, s56                                  // 000000006FDC: 85383880
	v_mul_u32_u24_dpp v39, v17, v54 row_newbcast:0 row_mask:0xf bank_mask:0xf// 000000006FE0: 104E6CFA FF015011
	v_mul_u32_u24_dpp v40, v17, v54 row_newbcast:4 row_mask:0xf bank_mask:0xf// 000000006FE8: 10506CFA FF015411
	v_mul_u32_u24_dpp v41, v17, v54 row_newbcast:8 row_mask:0xf bank_mask:0xf// 000000006FF0: 10526CFA FF015811
	v_mul_u32_u24_dpp v42, v17, v54 row_newbcast:12 row_mask:0xf bank_mask:0xf// 000000006FF8: 10546CFA FF015C11
	v_add_u32_e32 v23, v39, v6                                 // 000000007000: 682E0D27
	v_add_u32_e32 v24, v40, v6                                 // 000000007004: 68300D28
	v_add_u32_e32 v25, v41, v6                                 // 000000007008: 68320D29
	v_add_u32_e32 v26, v42, v6                                 // 00000000700C: 68340D2A
	v_mul_u32_u24_dpp v39, v17, v54 row_newbcast:1 row_mask:0xf bank_mask:0xf// 000000007010: 104E6CFA FF015111
	v_mul_u32_u24_dpp v40, v17, v54 row_newbcast:2 row_mask:0xf bank_mask:0xf// 000000007018: 10506CFA FF015211
	v_mul_u32_u24_dpp v41, v17, v54 row_newbcast:5 row_mask:0xf bank_mask:0xf// 000000007020: 10526CFA FF015511
	v_mul_u32_u24_dpp v42, v17, v54 row_newbcast:6 row_mask:0xf bank_mask:0xf// 000000007028: 10546CFA FF015611
	v_add_u32_e32 v192, v39, v7                                // 000000007030: 69800F27
	v_add_u32_e32 v193, v40, v7                                // 000000007034: 69820F28
	v_add_u32_e32 v194, v41, v7                                // 000000007038: 69840F29
	v_add_u32_e32 v195, v42, v7                                // 00000000703C: 69860F2A
	v_mul_u32_u24_dpp v39, v17, v54 row_newbcast:9 row_mask:0xf bank_mask:0xf// 000000007040: 104E6CFA FF015911
	v_mul_u32_u24_dpp v40, v17, v54 row_newbcast:10 row_mask:0xf bank_mask:0xf// 000000007048: 10506CFA FF015A11
	v_mul_u32_u24_dpp v41, v17, v54 row_newbcast:13 row_mask:0xf bank_mask:0xf// 000000007050: 10526CFA FF015D11
	v_mul_u32_u24_dpp v42, v17, v54 row_newbcast:7 row_mask:0xf bank_mask:0xf// 000000007058: 10546CFA FF015711
	v_add_u32_e32 v196, v39, v7                                // 000000007060: 69880F27
	v_add_u32_e32 v197, v40, v7                                // 000000007064: 698A0F28
	v_add_u32_e32 v198, v41, v7                                // 000000007068: 698C0F29
	v_add_u32_e32 v199, v42, v7                                // 00000000706C: 698E0F2A
	v_add_u32_e32 v1, s56, v1                                  // 000000007070: 68020238
	s_addk_i32 s70, 0x100                                      // 000000007074: B7460100
	s_cmp_lt_i32 s70, s71                                      // 000000007078: BF044746
	s_cbranch_scc0 label_1640                                  // 00000000707C: BF84029F
	s_waitcnt vmcnt(16) lgkmcnt(0)                             // 000000007080: BF8C4070
	v_mfma_f32_16x16x16_bf16 v[112:115], a[64:65], v[80:81], 0 // 000000007084: D3E10070 0A02A140
	v_mfma_f32_16x16x16_bf16 v[112:115], a[66:67], v[82:83], v[112:115]// 00000000708C: D3E10070 0DC2A542
	buffer_load_dwordx4 a[0:3], v23, s[16:19], 0 offen         // 000000007094: E05C1000 80840017
	v_mfma_f32_16x16x16_bf16 v[112:115], a[68:69], v[84:85], v[112:115]// 00000000709C: D3E10070 0DC2A944
	v_mfma_f32_16x16x16_bf16 v[112:115], a[70:71], v[86:87], v[112:115]// 0000000070A4: D3E10070 0DC2AD46
	buffer_load_dword v18, v1, s[24:27], 0 offen               // 0000000070AC: E0501000 80061201
	v_mfma_f32_16x16x16_bf16 v[112:115], a[72:73], v[88:89], v[112:115]// 0000000070B4: D3E10070 0DC2B148
	v_mfma_f32_16x16x16_bf16 v[112:115], a[74:75], v[90:91], v[112:115]// 0000000070BC: D3E10070 0DC2B54A
	buffer_load_dwordx4 a[4:7], v23, s[16:19], 0 offen offset:1024// 0000000070C4: E05C1400 80840417
	v_mfma_f32_16x16x16_bf16 v[112:115], a[76:77], v[92:93], v[112:115]// 0000000070CC: D3E10070 0DC2B94C
	v_mfma_f32_16x16x16_bf16 v[112:115], a[78:79], v[94:95], v[112:115]// 0000000070D4: D3E10070 0DC2BD4E
	v_mfma_f32_16x16x16_bf16 v[116:119], a[80:81], v[80:81], 0 // 0000000070DC: D3E10074 0A02A150
	v_mfma_f32_16x16x16_bf16 v[116:119], a[82:83], v[82:83], v[116:119]// 0000000070E4: D3E10074 0DD2A552
	buffer_load_dwordx4 a[8:11], v23, s[16:19], 0 offen offset:2048// 0000000070EC: E05C1800 80840817
	v_mfma_f32_16x16x16_bf16 v[116:119], a[84:85], v[84:85], v[116:119]// 0000000070F4: D3E10074 0DD2A954
	v_mfma_f32_16x16x16_bf16 v[116:119], a[86:87], v[86:87], v[116:119]// 0000000070FC: D3E10074 0DD2AD56
	v_mfma_f32_16x16x16_bf16 v[116:119], a[88:89], v[88:89], v[116:119]// 000000007104: D3E10074 0DD2B158
	v_mfma_f32_16x16x16_bf16 v[116:119], a[90:91], v[90:91], v[116:119]// 00000000710C: D3E10074 0DD2B55A
	buffer_load_dwordx4 a[12:15], v23, s[16:19], 0 offen offset:3072// 000000007114: E05C1C00 80840C17
	v_mfma_f32_16x16x16_bf16 v[116:119], a[92:93], v[92:93], v[116:119]// 00000000711C: D3E10074 0DD2B95C
	v_mfma_f32_16x16x16_bf16 v[116:119], a[94:95], v[94:95], v[116:119]// 000000007124: D3E10074 0DD2BD5E
	v_mfma_f32_16x16x16_bf16 v[120:123], a[96:97], v[80:81], 0 // 00000000712C: D3E10078 0A02A160
	v_mfma_f32_16x16x16_bf16 v[120:123], a[98:99], v[82:83], v[120:123]// 000000007134: D3E10078 0DE2A562
	buffer_load_dwordx4 a[16:19], v24, s[16:19], 0 offen       // 00000000713C: E05C1000 80841018
	v_mfma_f32_16x16x16_bf16 v[120:123], a[100:101], v[84:85], v[120:123]// 000000007144: D3E10078 0DE2A964
	v_mfma_f32_16x16x16_bf16 v[120:123], a[102:103], v[86:87], v[120:123]// 00000000714C: D3E10078 0DE2AD66
	v_mfma_f32_16x16x16_bf16 v[120:123], a[104:105], v[88:89], v[120:123]// 000000007154: D3E10078 0DE2B168
	v_mfma_f32_16x16x16_bf16 v[120:123], a[106:107], v[90:91], v[120:123]// 00000000715C: D3E10078 0DE2B56A
	buffer_load_dwordx4 a[20:23], v24, s[16:19], 0 offen offset:1024// 000000007164: E05C1400 80841418
	v_mfma_f32_16x16x16_bf16 v[120:123], a[108:109], v[92:93], v[120:123]// 00000000716C: D3E10078 0DE2B96C
	v_mfma_f32_16x16x16_bf16 v[120:123], a[110:111], v[94:95], v[120:123]// 000000007174: D3E10078 0DE2BD6E
	v_mfma_f32_16x16x16_bf16 v[124:127], a[112:113], v[80:81], 0// 00000000717C: D3E1007C 0A02A170
	v_mfma_f32_16x16x16_bf16 v[124:127], a[114:115], v[82:83], v[124:127]// 000000007184: D3E1007C 0DF2A572
	buffer_load_dwordx4 a[24:27], v24, s[16:19], 0 offen offset:2048// 00000000718C: E05C1800 80841818
	v_mfma_f32_16x16x16_bf16 v[124:127], a[116:117], v[84:85], v[124:127]// 000000007194: D3E1007C 0DF2A974
	v_mfma_f32_16x16x16_bf16 v[124:127], a[118:119], v[86:87], v[124:127]// 00000000719C: D3E1007C 0DF2AD76
	v_mfma_f32_16x16x16_bf16 v[124:127], a[120:121], v[88:89], v[124:127]// 0000000071A4: D3E1007C 0DF2B178
	v_mfma_f32_16x16x16_bf16 v[124:127], a[122:123], v[90:91], v[124:127]// 0000000071AC: D3E1007C 0DF2B57A
	buffer_load_dwordx4 a[28:31], v24, s[16:19], 0 offen offset:3072// 0000000071B4: E05C1C00 80841C18
	v_mfma_f32_16x16x16_bf16 v[124:127], a[124:125], v[92:93], v[124:127]// 0000000071BC: D3E1007C 0DF2B97C
	v_mfma_f32_16x16x16_bf16 v[124:127], a[126:127], v[94:95], v[124:127]// 0000000071C4: D3E1007C 0DF2BD7E
	s_cmp_le_i32 s90, s89                                      // 0000000071CC: BF05595A
	s_cbranch_scc1 label_1469                                  // 0000000071D0: BF850073
	v_mov_b32_e32 v55, 0xff800000                              // 0000000071D4: 7E6E02FF FF800000
	s_mov_b32 s60, s90                                         // 0000000071DC: BEBC005A
	s_add_u32 s61, s89, 0xff                                   // 0000000071E0: 803DFF59 000000FF
	v_mov_b32_e32 v39, s61                                     // 0000000071E8: 7E4E023D
	v_lshrrev_b32_e32 v31, 4, v0                               // 0000000071EC: 203E0084
	v_mul_i32_i24_e32 v31, 4, v31                              // 0000000071F0: 0C3E3E84
	v_add_u32_e32 v31, s60, v31                                // 0000000071F4: 683E3E3C
	v_and_b32_e32 v40, 15, v0                                  // 0000000071F8: 2650008F
	v_lshrrev_b32_e32 v40, 3, v40                              // 0000000071FC: 20505083
	s_mov_b32 s61, 0                                           // 000000007200: BEBD0080
	s_mul_i32 s60, 16, s7                                      // 000000007204: 923C0790
	v_add_u32_e32 v40, s61, v40                                // 000000007208: 6850503D
	v_sub_u32_e32 v31, v31, v40                                // 00000000720C: 6A3E511F
	v_add_u32_e32 v31, s60, v31                                // 000000007210: 683E3E3C
	v_add_u32_e32 v32, 1, v31                                  // 000000007214: 68403E81
	v_add_u32_e32 v33, 2, v31                                  // 000000007218: 68423E82
	v_add_u32_e32 v34, 3, v31                                  // 00000000721C: 68443E83
	v_cmp_le_u32_e64 s[40:41], v31, v39                        // 000000007220: D0CB0028 00024F1F
	v_add_u32_e32 v31, 64, v31                                 // 000000007228: 683E3EC0
	s_nop 0                                                    // 00000000722C: BF800000
	v_cndmask_b32_e64 v112, v55, v112, s[40:41]                // 000000007230: D1000070 00A2E137
	v_cmp_le_u32_e64 s[40:41], v32, v39                        // 000000007238: D0CB0028 00024F20
	v_add_u32_e32 v32, 64, v32                                 // 000000007240: 684040C0
	s_nop 0                                                    // 000000007244: BF800000
	v_cndmask_b32_e64 v113, v55, v113, s[40:41]                // 000000007248: D1000071 00A2E337
	v_cmp_le_u32_e64 s[40:41], v33, v39                        // 000000007250: D0CB0028 00024F21
	v_add_u32_e32 v33, 64, v33                                 // 000000007258: 684242C0
	s_nop 0                                                    // 00000000725C: BF800000
	v_cndmask_b32_e64 v114, v55, v114, s[40:41]                // 000000007260: D1000072 00A2E537
	v_cmp_le_u32_e64 s[40:41], v34, v39                        // 000000007268: D0CB0028 00024F22
	v_add_u32_e32 v34, 64, v34                                 // 000000007270: 684444C0
	s_nop 0                                                    // 000000007274: BF800000
	v_cndmask_b32_e64 v115, v55, v115, s[40:41]                // 000000007278: D1000073 00A2E737
	v_cmp_le_u32_e64 s[40:41], v31, v39                        // 000000007280: D0CB0028 00024F1F
	v_add_u32_e32 v31, 64, v31                                 // 000000007288: 683E3EC0
	s_nop 0                                                    // 00000000728C: BF800000
	v_cndmask_b32_e64 v116, v55, v116, s[40:41]                // 000000007290: D1000074 00A2E937
	v_cmp_le_u32_e64 s[40:41], v32, v39                        // 000000007298: D0CB0028 00024F20
	v_add_u32_e32 v32, 64, v32                                 // 0000000072A0: 684040C0
	s_nop 0                                                    // 0000000072A4: BF800000
	v_cndmask_b32_e64 v117, v55, v117, s[40:41]                // 0000000072A8: D1000075 00A2EB37
	v_cmp_le_u32_e64 s[40:41], v33, v39                        // 0000000072B0: D0CB0028 00024F21
	v_add_u32_e32 v33, 64, v33                                 // 0000000072B8: 684242C0
	s_nop 0                                                    // 0000000072BC: BF800000
	v_cndmask_b32_e64 v118, v55, v118, s[40:41]                // 0000000072C0: D1000076 00A2ED37
	v_cmp_le_u32_e64 s[40:41], v34, v39                        // 0000000072C8: D0CB0028 00024F22
	v_add_u32_e32 v34, 64, v34                                 // 0000000072D0: 684444C0
	s_nop 0                                                    // 0000000072D4: BF800000
	v_cndmask_b32_e64 v119, v55, v119, s[40:41]                // 0000000072D8: D1000077 00A2EF37
	v_cmp_le_u32_e64 s[40:41], v31, v39                        // 0000000072E0: D0CB0028 00024F1F
	v_add_u32_e32 v31, 64, v31                                 // 0000000072E8: 683E3EC0
	s_nop 0                                                    // 0000000072EC: BF800000
	v_cndmask_b32_e64 v120, v55, v120, s[40:41]                // 0000000072F0: D1000078 00A2F137
	v_cmp_le_u32_e64 s[40:41], v32, v39                        // 0000000072F8: D0CB0028 00024F20
	v_add_u32_e32 v32, 64, v32                                 // 000000007300: 684040C0
	s_nop 0                                                    // 000000007304: BF800000
	v_cndmask_b32_e64 v121, v55, v121, s[40:41]                // 000000007308: D1000079 00A2F337
	v_cmp_le_u32_e64 s[40:41], v33, v39                        // 000000007310: D0CB0028 00024F21
	v_add_u32_e32 v33, 64, v33                                 // 000000007318: 684242C0
	s_nop 0                                                    // 00000000731C: BF800000
	v_cndmask_b32_e64 v122, v55, v122, s[40:41]                // 000000007320: D100007A 00A2F537
	v_cmp_le_u32_e64 s[40:41], v34, v39                        // 000000007328: D0CB0028 00024F22
	v_add_u32_e32 v34, 64, v34                                 // 000000007330: 684444C0
	s_nop 0                                                    // 000000007334: BF800000
	v_cndmask_b32_e64 v123, v55, v123, s[40:41]                // 000000007338: D100007B 00A2F737
	v_cmp_le_u32_e64 s[40:41], v31, v39                        // 000000007340: D0CB0028 00024F1F
	v_add_u32_e32 v31, 64, v31                                 // 000000007348: 683E3EC0
	s_nop 0                                                    // 00000000734C: BF800000
	v_cndmask_b32_e64 v124, v55, v124, s[40:41]                // 000000007350: D100007C 00A2F937
	v_cmp_le_u32_e64 s[40:41], v32, v39                        // 000000007358: D0CB0028 00024F20
	v_add_u32_e32 v32, 64, v32                                 // 000000007360: 684040C0
	s_nop 0                                                    // 000000007364: BF800000
	v_cndmask_b32_e64 v125, v55, v125, s[40:41]                // 000000007368: D100007D 00A2FB37
	v_cmp_le_u32_e64 s[40:41], v33, v39                        // 000000007370: D0CB0028 00024F21
	v_add_u32_e32 v33, 64, v33                                 // 000000007378: 684242C0
	s_nop 0                                                    // 00000000737C: BF800000
	v_cndmask_b32_e64 v126, v55, v126, s[40:41]                // 000000007380: D100007E 00A2FD37
	v_cmp_le_u32_e64 s[40:41], v34, v39                        // 000000007388: D0CB0028 00024F22
	v_add_u32_e32 v34, 64, v34                                 // 000000007390: 684444C0
	s_nop 0                                                    // 000000007394: BF800000
	v_cndmask_b32_e64 v127, v55, v127, s[40:41]                // 000000007398: D100007F 00A2FF37

00000000000073a0 <label_1469>:
	s_add_u32 s90, s91, s90                                    // 0000000073A0: 805A5A5B
	s_nop 0                                                    // 0000000073A4: BF800000
	buffer_load_dwordx4 a[32:35], v25, s[16:19], 0 offen       // 0000000073A8: E05C1000 80842019
	s_nop 8                                                    // 0000000073B0: BF800008
	buffer_load_dwordx4 a[36:39], v25, s[16:19], 0 offen offset:1024// 0000000073B4: E05C1400 80842419
	v_mov_b32_e32 v50, v112                                    // 0000000073BC: 7E640370
	v_max3_f32 v50, v112, v113, v50                            // 0000000073C0: D1D30032 04CAE370
	v_max3_f32 v50, v114, v115, v50                            // 0000000073C8: D1D30032 04CAE772
	v_max3_f32 v50, v116, v117, v50                            // 0000000073D0: D1D30032 04CAEB74
	v_max3_f32 v50, v118, v119, v50                            // 0000000073D8: D1D30032 04CAEF76
	v_max3_f32 v50, v120, v121, v50                            // 0000000073E0: D1D30032 04CAF378
	v_max3_f32 v50, v122, v123, v50                            // 0000000073E8: D1D30032 04CAF77A
	v_max3_f32 v50, v124, v125, v50                            // 0000000073F0: D1D30032 04CAFB7C
	v_max3_f32 v50, v126, v127, v50                            // 0000000073F8: D1D30032 04CAFF7E
	ds_write_b32 v11, v50                                      // 000000007400: D81A0000 0000320B
	buffer_load_dwordx4 a[40:43], v25, s[16:19], 0 offen offset:2048// 000000007408: E05C1800 80842819
	s_waitcnt lgkmcnt(0)                                       // 000000007410: BF8CC07F
	s_barrier                                                  // 000000007414: BF8A0000
	ds_read_b32 v64, v10                                       // 000000007418: D86C0000 4000000A
	buffer_load_dwordx4 a[44:47], v25, s[16:19], 0 offen offset:3072// 000000007420: E05C1C00 80842C19
	ds_read_b32 v65, v10 offset:64                             // 000000007428: D86C0040 4100000A
	ds_read_b32 v66, v10 offset:128                            // 000000007430: D86C0080 4200000A
	ds_read_b32 v67, v10 offset:192                            // 000000007438: D86C00C0 4300000A
	ds_read_b32 v68, v10 offset:256                            // 000000007440: D86C0100 4400000A
	ds_read_b32 v69, v10 offset:320                            // 000000007448: D86C0140 4500000A
	ds_read_b32 v70, v10 offset:384                            // 000000007450: D86C0180 4600000A
	ds_read_b32 v71, v10 offset:448                            // 000000007458: D86C01C0 4700000A
	ds_read_b32 v72, v10 offset:512                            // 000000007460: D86C0200 4800000A
	buffer_load_dwordx4 a[48:51], v26, s[16:19], 0 offen       // 000000007468: E05C1000 8084301A
	ds_read_b32 v73, v10 offset:576                            // 000000007470: D86C0240 4900000A
	ds_read_b32 v74, v10 offset:640                            // 000000007478: D86C0280 4A00000A
	ds_read_b32 v75, v10 offset:704                            // 000000007480: D86C02C0 4B00000A
	ds_read_b32 v76, v10 offset:768                            // 000000007488: D86C0300 4C00000A
	ds_read_b32 v77, v10 offset:832                            // 000000007490: D86C0340 4D00000A
	ds_read_b32 v78, v10 offset:896                            // 000000007498: D86C0380 4E00000A
	ds_read_b32 v79, v10 offset:960                            // 0000000074A0: D86C03C0 4F00000A
	buffer_load_dwordx4 a[52:55], v26, s[16:19], 0 offen offset:1024// 0000000074A8: E05C1400 8084341A
	buffer_load_dwordx4 a[56:59], v26, s[16:19], 0 offen offset:2048// 0000000074B0: E05C1800 8084381A
	s_waitcnt lgkmcnt(0)                                       // 0000000074B8: BF8CC07F
	v_max3_f32 v50, v64, v65, v50                              // 0000000074BC: D1D30032 04CA8340
	v_max3_f32 v50, v66, v67, v50                              // 0000000074C4: D1D30032 04CA8742
	v_max3_f32 v50, v68, v69, v50                              // 0000000074CC: D1D30032 04CA8B44
	v_max3_f32 v50, v70, v71, v50                              // 0000000074D4: D1D30032 04CA8F46
	v_max3_f32 v50, v72, v73, v50                              // 0000000074DC: D1D30032 04CA9348
	v_max3_f32 v50, v74, v75, v50                              // 0000000074E4: D1D30032 04CA974A
	v_max3_f32 v50, v76, v77, v50                              // 0000000074EC: D1D30032 04CA9B4C
	v_max3_f32 v50, v78, v79, v50                              // 0000000074F4: D1D30032 04CA9F4E
	buffer_load_dwordx4 a[60:63], v26, s[16:19], 0 offen offset:3072// 0000000074FC: E05C1C00 80843C1A
	v_cmp_eq_u32_e64 s[40:41], v55, v14                        // 000000007504: D0CA0028 00021D37
	s_nop 1                                                    // 00000000750C: BF800001
	v_max_f32_e32 v16, v50, v14                                // 000000007510: 16201D32
	v_sub_f32_e32 v51, v14, v16                                // 000000007514: 0466210E
	v_cndmask_b32_e64 v51, v51, 0, s[40:41]                    // 000000007518: D1000033 00A10133
	v_mov_b32_e32 v14, v16                                     // 000000007520: 7E1C0310
	v_mul_f32_e32 v53, s64, v16                                // 000000007524: 0A6A2040
	v_mul_f32_e32 v51, s64, v51                                // 000000007528: 0A666640
	v_exp_f32_e32 v51, v51                                     // 00000000752C: 7E664133
	buffer_load_dwordx4 a[128:131], v192, s[20:23], 0 offen    // 000000007530: E05C1000 808580C0
	v_fma_f32 v112, v112, s64, -v53                            // 000000007538: D1CB0070 84D48170
	v_fma_f32 v113, v113, s64, -v53                            // 000000007540: D1CB0071 84D48171
	v_fma_f32 v114, v114, s64, -v53                            // 000000007548: D1CB0072 84D48172
	v_fma_f32 v115, v115, s64, -v53                            // 000000007550: D1CB0073 84D48173
	v_fma_f32 v116, v116, s64, -v53                            // 000000007558: D1CB0074 84D48174
	v_fma_f32 v117, v117, s64, -v53                            // 000000007560: D1CB0075 84D48175
	v_fma_f32 v118, v118, s64, -v53                            // 000000007568: D1CB0076 84D48176
	v_fma_f32 v119, v119, s64, -v53                            // 000000007570: D1CB0077 84D48177
	v_fma_f32 v120, v120, s64, -v53                            // 000000007578: D1CB0078 84D48178
	v_fma_f32 v121, v121, s64, -v53                            // 000000007580: D1CB0079 84D48179
	v_fma_f32 v122, v122, s64, -v53                            // 000000007588: D1CB007A 84D4817A
	v_fma_f32 v123, v123, s64, -v53                            // 000000007590: D1CB007B 84D4817B
	v_fma_f32 v124, v124, s64, -v53                            // 000000007598: D1CB007C 84D4817C
	v_fma_f32 v125, v125, s64, -v53                            // 0000000075A0: D1CB007D 84D4817D
	v_fma_f32 v126, v126, s64, -v53                            // 0000000075A8: D1CB007E 84D4817E
	v_fma_f32 v127, v127, s64, -v53                            // 0000000075B0: D1CB007F 84D4817F
	v_exp_f32_e32 v112, v112                                   // 0000000075B8: 7EE04170
	v_exp_f32_e32 v113, v113                                   // 0000000075BC: 7EE24171
	v_exp_f32_e32 v114, v114                                   // 0000000075C0: 7EE44172
	v_exp_f32_e32 v115, v115                                   // 0000000075C4: 7EE64173
	v_exp_f32_e32 v116, v116                                   // 0000000075C8: 7EE84174
	v_exp_f32_e32 v117, v117                                   // 0000000075CC: 7EEA4175
	v_exp_f32_e32 v118, v118                                   // 0000000075D0: 7EEC4176
	v_exp_f32_e32 v119, v119                                   // 0000000075D4: 7EEE4177
	v_exp_f32_e32 v120, v120                                   // 0000000075D8: 7EF04178
	v_exp_f32_e32 v121, v121                                   // 0000000075DC: 7EF24179
	v_exp_f32_e32 v122, v122                                   // 0000000075E0: 7EF4417A
	v_exp_f32_e32 v123, v123                                   // 0000000075E4: 7EF6417B
	v_exp_f32_e32 v124, v124                                   // 0000000075E8: 7EF8417C
	v_exp_f32_e32 v125, v125                                   // 0000000075EC: 7EFA417D
	v_exp_f32_e32 v126, v126                                   // 0000000075F0: 7EFC417E
	v_exp_f32_e32 v127, v127                                   // 0000000075F4: 7EFE417F
	buffer_load_dwordx4 a[132:135], v193, s[20:23], 0 offen    // 0000000075F8: E05C1000 808584C1
	v_mul_f32_e32 v43, v51, v43                                // 000000007600: 0A565733
	v_mov_b32_e32 v45, v112                                    // 000000007604: 7E5A0370
	v_add_f32_e32 v45, v113, v45                               // 000000007608: 025A5B71
	v_add_f32_e32 v45, v114, v45                               // 00000000760C: 025A5B72
	v_add_f32_e32 v45, v115, v45                               // 000000007610: 025A5B73
	v_add_f32_e32 v45, v116, v45                               // 000000007614: 025A5B74
	v_add_f32_e32 v45, v117, v45                               // 000000007618: 025A5B75
	v_add_f32_e32 v45, v118, v45                               // 00000000761C: 025A5B76
	v_add_f32_e32 v45, v119, v45                               // 000000007620: 025A5B77
	v_add_f32_e32 v45, v120, v45                               // 000000007624: 025A5B78
	v_add_f32_e32 v45, v121, v45                               // 000000007628: 025A5B79
	v_add_f32_e32 v45, v122, v45                               // 00000000762C: 025A5B7A
	v_add_f32_e32 v45, v123, v45                               // 000000007630: 025A5B7B
	v_add_f32_e32 v45, v124, v45                               // 000000007634: 025A5B7C
	v_add_f32_e32 v45, v125, v45                               // 000000007638: 025A5B7D
	v_add_f32_e32 v45, v126, v45                               // 00000000763C: 025A5B7E
	v_add_f32_e32 v45, v127, v45                               // 000000007640: 025A5B7F
	v_add_f32_e32 v43, v45, v43                                // 000000007644: 0256572D
	buffer_load_dwordx4 a[136:139], v194, s[20:23], 0 offen    // 000000007648: E05C1000 808588C2
	v_cmp_u_f32_e64 s[40:41], v112, v112                       // 000000007650: D0480028 0002E170
	v_add3_u32 v19, v112, v22, 1                               // 000000007658: D1FF0013 02062D70
	v_cndmask_b32_e64 v39, v19, v21, s[40:41]                  // 000000007660: D1000027 00A22B13
	v_cmp_u_f32_e64 s[40:41], v113, v113                       // 000000007668: D0480028 0002E371
	v_add3_u32 v19, v113, v22, 1                               // 000000007670: D1FF0013 02062D71
	v_cndmask_b32_e64 v40, v19, v21, s[40:41]                  // 000000007678: D1000028 00A22B13
	v_perm_b32 v112, v40, v39, s52                             // 000000007680: D1ED0070 00D24F28
	v_cmp_u_f32_e64 s[40:41], v114, v114                       // 000000007688: D0480028 0002E572
	v_add3_u32 v19, v114, v22, 1                               // 000000007690: D1FF0013 02062D72
	v_cndmask_b32_e64 v39, v19, v21, s[40:41]                  // 000000007698: D1000027 00A22B13
	v_cmp_u_f32_e64 s[40:41], v115, v115                       // 0000000076A0: D0480028 0002E773
	v_add3_u32 v19, v115, v22, 1                               // 0000000076A8: D1FF0013 02062D73
	v_cndmask_b32_e64 v40, v19, v21, s[40:41]                  // 0000000076B0: D1000028 00A22B13
	v_perm_b32 v113, v40, v39, s52                             // 0000000076B8: D1ED0071 00D24F28
	v_cmp_u_f32_e64 s[40:41], v116, v116                       // 0000000076C0: D0480028 0002E974
	v_add3_u32 v19, v116, v22, 1                               // 0000000076C8: D1FF0013 02062D74
	v_cndmask_b32_e64 v39, v19, v21, s[40:41]                  // 0000000076D0: D1000027 00A22B13
	v_cmp_u_f32_e64 s[40:41], v117, v117                       // 0000000076D8: D0480028 0002EB75
	v_add3_u32 v19, v117, v22, 1                               // 0000000076E0: D1FF0013 02062D75
	v_cndmask_b32_e64 v40, v19, v21, s[40:41]                  // 0000000076E8: D1000028 00A22B13
	v_perm_b32 v114, v40, v39, s52                             // 0000000076F0: D1ED0072 00D24F28
	v_cmp_u_f32_e64 s[40:41], v118, v118                       // 0000000076F8: D0480028 0002ED76
	v_add3_u32 v19, v118, v22, 1                               // 000000007700: D1FF0013 02062D76
	v_cndmask_b32_e64 v39, v19, v21, s[40:41]                  // 000000007708: D1000027 00A22B13
	v_cmp_u_f32_e64 s[40:41], v119, v119                       // 000000007710: D0480028 0002EF77
	v_add3_u32 v19, v119, v22, 1                               // 000000007718: D1FF0013 02062D77
	v_cndmask_b32_e64 v40, v19, v21, s[40:41]                  // 000000007720: D1000028 00A22B13
	v_perm_b32 v115, v40, v39, s52                             // 000000007728: D1ED0073 00D24F28
	v_cmp_u_f32_e64 s[40:41], v120, v120                       // 000000007730: D0480028 0002F178
	v_add3_u32 v19, v120, v22, 1                               // 000000007738: D1FF0013 02062D78
	v_cndmask_b32_e64 v39, v19, v21, s[40:41]                  // 000000007740: D1000027 00A22B13
	v_cmp_u_f32_e64 s[40:41], v121, v121                       // 000000007748: D0480028 0002F379
	v_add3_u32 v19, v121, v22, 1                               // 000000007750: D1FF0013 02062D79
	v_cndmask_b32_e64 v40, v19, v21, s[40:41]                  // 000000007758: D1000028 00A22B13
	v_perm_b32 v116, v40, v39, s52                             // 000000007760: D1ED0074 00D24F28
	v_cmp_u_f32_e64 s[40:41], v122, v122                       // 000000007768: D0480028 0002F57A
	v_add3_u32 v19, v122, v22, 1                               // 000000007770: D1FF0013 02062D7A
	v_cndmask_b32_e64 v39, v19, v21, s[40:41]                  // 000000007778: D1000027 00A22B13
	v_cmp_u_f32_e64 s[40:41], v123, v123                       // 000000007780: D0480028 0002F77B
	v_add3_u32 v19, v123, v22, 1                               // 000000007788: D1FF0013 02062D7B
	v_cndmask_b32_e64 v40, v19, v21, s[40:41]                  // 000000007790: D1000028 00A22B13
	v_perm_b32 v117, v40, v39, s52                             // 000000007798: D1ED0075 00D24F28
	v_cmp_u_f32_e64 s[40:41], v124, v124                       // 0000000077A0: D0480028 0002F97C
	v_add3_u32 v19, v124, v22, 1                               // 0000000077A8: D1FF0013 02062D7C
	v_cndmask_b32_e64 v39, v19, v21, s[40:41]                  // 0000000077B0: D1000027 00A22B13
	v_cmp_u_f32_e64 s[40:41], v125, v125                       // 0000000077B8: D0480028 0002FB7D
	v_add3_u32 v19, v125, v22, 1                               // 0000000077C0: D1FF0013 02062D7D
	v_cndmask_b32_e64 v40, v19, v21, s[40:41]                  // 0000000077C8: D1000028 00A22B13
	v_perm_b32 v118, v40, v39, s52                             // 0000000077D0: D1ED0076 00D24F28
	v_cmp_u_f32_e64 s[40:41], v126, v126                       // 0000000077D8: D0480028 0002FD7E
	v_add3_u32 v19, v126, v22, 1                               // 0000000077E0: D1FF0013 02062D7E
	v_cndmask_b32_e64 v39, v19, v21, s[40:41]                  // 0000000077E8: D1000027 00A22B13
	v_cmp_u_f32_e64 s[40:41], v127, v127                       // 0000000077F0: D0480028 0002FF7F
	v_add3_u32 v19, v127, v22, 1                               // 0000000077F8: D1FF0013 02062D7F
	v_cndmask_b32_e64 v40, v19, v21, s[40:41]                  // 000000007800: D1000028 00A22B13
	v_perm_b32 v119, v40, v39, s52                             // 000000007808: D1ED0077 00D24F28
	buffer_load_dwordx4 a[140:143], v195, s[20:23], 0 offen    // 000000007810: E05C1000 80858CC3
	buffer_load_dwordx4 a[144:147], v196, s[20:23], 0 offen    // 000000007818: E05C1000 808590C4
	ds_write_b64 v13, v[112:113] offset:4096                   // 000000007820: D89A1000 0000700D
	ds_write_b64 v13, v[114:115] offset:6144                   // 000000007828: D89A1800 0000720D
	ds_write_b64 v13, v[116:117] offset:8192                   // 000000007830: D89A2000 0000740D
	ds_write_b64 v13, v[118:119] offset:10240                  // 000000007838: D89A2800 0000760D
	buffer_load_dwordx4 a[148:151], v197, s[20:23], 0 offen    // 000000007840: E05C1000 808594C5
	s_waitcnt lgkmcnt(0)                                       // 000000007848: BF8CC07F
	s_barrier                                                  // 00000000784C: BF8A0000
	ds_read_b64 v[112:113], v12 offset:4096                    // 000000007850: D8EC1000 7000000C
	ds_read_b64 v[114:115], v12 offset:4224                    // 000000007858: D8EC1080 7200000C
	ds_read_b64 v[116:117], v12 offset:5120                    // 000000007860: D8EC1400 7400000C
	ds_read_b64 v[118:119], v12 offset:5248                    // 000000007868: D8EC1480 7600000C
	ds_read_b64 v[120:121], v12 offset:6144                    // 000000007870: D8EC1800 7800000C
	ds_read_b64 v[122:123], v12 offset:6272                    // 000000007878: D8EC1880 7A00000C
	ds_read_b64 v[124:125], v12 offset:7168                    // 000000007880: D8EC1C00 7C00000C
	ds_read_b64 v[126:127], v12 offset:7296                    // 000000007888: D8EC1C80 7E00000C
	ds_read_b64 v[128:129], v12 offset:8192                    // 000000007890: D8EC2000 8000000C
	ds_read_b64 v[130:131], v12 offset:8320                    // 000000007898: D8EC2080 8200000C
	ds_read_b64 v[132:133], v12 offset:9216                    // 0000000078A0: D8EC2400 8400000C
	ds_read_b64 v[134:135], v12 offset:9344                    // 0000000078A8: D8EC2480 8600000C
	ds_read_b64 v[136:137], v12 offset:10240                   // 0000000078B0: D8EC2800 8800000C
	ds_read_b64 v[138:139], v12 offset:10368                   // 0000000078B8: D8EC2880 8A00000C
	ds_read_b64 v[140:141], v12 offset:11264                   // 0000000078C0: D8EC2C00 8C00000C
	ds_read_b64 v[142:143], v12 offset:11392                   // 0000000078C8: D8EC2C80 8E00000C
	buffer_load_dwordx4 a[152:155], v198, s[20:23], 0 offen    // 0000000078D0: E05C1000 808598C6
	buffer_load_dwordx4 a[156:159], v199, s[20:23], 0 offen    // 0000000078D8: E05C1000 80859CC7
	s_waitcnt lgkmcnt(0)                                       // 0000000078E0: BF8CC07F
	v_mul_f32_e32 v176, v51, v176                              // 0000000078E4: 0B616133
	v_mul_f32_e32 v177, v51, v177                              // 0000000078E8: 0B636333
	v_mul_f32_e32 v178, v51, v178                              // 0000000078EC: 0B656533
	v_mul_f32_e32 v179, v51, v179                              // 0000000078F0: 0B676733
	v_mul_f32_e32 v180, v51, v180                              // 0000000078F4: 0B696933
	v_mul_f32_e32 v181, v51, v181                              // 0000000078F8: 0B6B6B33
	v_mul_f32_e32 v182, v51, v182                              // 0000000078FC: 0B6D6D33
	v_mul_f32_e32 v183, v51, v183                              // 000000007900: 0B6F6F33
	s_waitcnt vmcnt(24)                                        // 000000007904: BF8C4F78
	v_mfma_f32_16x16x16_bf16 v[176:179], a[192:193], v[112:113], v[176:179]// 000000007908: D3E100B0 0EC2E1C0
	v_mfma_f32_16x16x16_bf16 v[176:179], a[194:195], v[114:115], v[176:179]// 000000007910: D3E100B0 0EC2E5C2
	buffer_load_dwordx4 a[160:163], v192, s[20:23], 0 offen offset:1024// 000000007918: E05C1400 8085A0C0
	v_mfma_f32_16x16x16_bf16 v[176:179], a[196:197], v[116:117], v[176:179]// 000000007920: D3E100B0 0EC2E9C4
	v_mfma_f32_16x16x16_bf16 v[176:179], a[198:199], v[118:119], v[176:179]// 000000007928: D3E100B0 0EC2EDC6
	v_mfma_f32_16x16x16_bf16 v[176:179], a[200:201], v[120:121], v[176:179]// 000000007930: D3E100B0 0EC2F1C8
	v_mfma_f32_16x16x16_bf16 v[176:179], a[202:203], v[122:123], v[176:179]// 000000007938: D3E100B0 0EC2F5CA
	buffer_load_dwordx4 a[164:167], v193, s[20:23], 0 offen offset:1024// 000000007940: E05C1400 8085A4C1
	v_mfma_f32_16x16x16_bf16 v[176:179], a[204:205], v[124:125], v[176:179]// 000000007948: D3E100B0 0EC2F9CC
	v_mfma_f32_16x16x16_bf16 v[176:179], a[206:207], v[126:127], v[176:179]// 000000007950: D3E100B0 0EC2FDCE
	v_mfma_f32_16x16x16_bf16 v[176:179], a[208:209], v[128:129], v[176:179]// 000000007958: D3E100B0 0EC301D0
	v_mfma_f32_16x16x16_bf16 v[176:179], a[210:211], v[130:131], v[176:179]// 000000007960: D3E100B0 0EC305D2
	buffer_load_dwordx4 a[168:171], v194, s[20:23], 0 offen offset:1024// 000000007968: E05C1400 8085A8C2
	v_mfma_f32_16x16x16_bf16 v[176:179], a[212:213], v[132:133], v[176:179]// 000000007970: D3E100B0 0EC309D4
	v_mfma_f32_16x16x16_bf16 v[176:179], a[214:215], v[134:135], v[176:179]// 000000007978: D3E100B0 0EC30DD6
	v_mfma_f32_16x16x16_bf16 v[176:179], a[216:217], v[136:137], v[176:179]// 000000007980: D3E100B0 0EC311D8
	v_mfma_f32_16x16x16_bf16 v[176:179], a[218:219], v[138:139], v[176:179]// 000000007988: D3E100B0 0EC315DA
	buffer_load_dwordx4 a[172:175], v195, s[20:23], 0 offen offset:1024// 000000007990: E05C1400 8085ACC3
	v_mfma_f32_16x16x16_bf16 v[176:179], a[220:221], v[140:141], v[176:179]// 000000007998: D3E100B0 0EC319DC
	v_mfma_f32_16x16x16_bf16 v[176:179], a[222:223], v[142:143], v[176:179]// 0000000079A0: D3E100B0 0EC31DDE
	v_mfma_f32_16x16x16_bf16 v[180:183], a[224:225], v[112:113], v[180:183]// 0000000079A8: D3E100B4 0ED2E1E0
	v_mfma_f32_16x16x16_bf16 v[180:183], a[226:227], v[114:115], v[180:183]// 0000000079B0: D3E100B4 0ED2E5E2
	buffer_load_dwordx4 a[176:179], v196, s[20:23], 0 offen offset:1024// 0000000079B8: E05C1400 8085B0C4
	v_mfma_f32_16x16x16_bf16 v[180:183], a[228:229], v[116:117], v[180:183]// 0000000079C0: D3E100B4 0ED2E9E4
	v_mfma_f32_16x16x16_bf16 v[180:183], a[230:231], v[118:119], v[180:183]// 0000000079C8: D3E100B4 0ED2EDE6
	v_mfma_f32_16x16x16_bf16 v[180:183], a[232:233], v[120:121], v[180:183]// 0000000079D0: D3E100B4 0ED2F1E8
	v_mfma_f32_16x16x16_bf16 v[180:183], a[234:235], v[122:123], v[180:183]// 0000000079D8: D3E100B4 0ED2F5EA
	buffer_load_dwordx4 a[180:183], v197, s[20:23], 0 offen offset:1024// 0000000079E0: E05C1400 8085B4C5
	v_mfma_f32_16x16x16_bf16 v[180:183], a[236:237], v[124:125], v[180:183]// 0000000079E8: D3E100B4 0ED2F9EC
	v_mfma_f32_16x16x16_bf16 v[180:183], a[238:239], v[126:127], v[180:183]// 0000000079F0: D3E100B4 0ED2FDEE
	v_mfma_f32_16x16x16_bf16 v[180:183], a[240:241], v[128:129], v[180:183]// 0000000079F8: D3E100B4 0ED301F0
	v_mfma_f32_16x16x16_bf16 v[180:183], a[242:243], v[130:131], v[180:183]// 000000007A00: D3E100B4 0ED305F2
	buffer_load_dwordx4 a[184:187], v198, s[20:23], 0 offen offset:1024// 000000007A08: E05C1400 8085B8C6
	v_mfma_f32_16x16x16_bf16 v[180:183], a[244:245], v[132:133], v[180:183]// 000000007A10: D3E100B4 0ED309F4
	v_mfma_f32_16x16x16_bf16 v[180:183], a[246:247], v[134:135], v[180:183]// 000000007A18: D3E100B4 0ED30DF6
	v_mfma_f32_16x16x16_bf16 v[180:183], a[248:249], v[136:137], v[180:183]// 000000007A20: D3E100B4 0ED311F8
	v_mfma_f32_16x16x16_bf16 v[180:183], a[250:251], v[138:139], v[180:183]// 000000007A28: D3E100B4 0ED315FA
	buffer_load_dwordx4 a[188:191], v199, s[20:23], 0 offen offset:1024// 000000007A30: E05C1400 8085BCC7
	v_mfma_f32_16x16x16_bf16 v[180:183], a[252:253], v[140:141], v[180:183]// 000000007A38: D3E100B4 0ED319FC
	v_mfma_f32_16x16x16_bf16 v[180:183], a[254:255], v[142:143], v[180:183]// 000000007A40: D3E100B4 0ED31DFE
	s_lshr_b32 s60, s70, 4                                     // 000000007A48: 8F3C8446
	s_add_u32 s60, 48, s60                                     // 000000007A4C: 803C3CB0
	s_cmp_ge_u32 s60, s73                                      // 000000007A50: BF09493C
	s_cselect_b32 s56, 0, s56                                  // 000000007A54: 85383880
	v_mul_u32_u24_dpp v39, v18, v54 row_newbcast:0 row_mask:0xf bank_mask:0xf// 000000007A58: 104E6CFA FF015012
	v_mul_u32_u24_dpp v40, v18, v54 row_newbcast:4 row_mask:0xf bank_mask:0xf// 000000007A60: 10506CFA FF015412
	v_mul_u32_u24_dpp v41, v18, v54 row_newbcast:8 row_mask:0xf bank_mask:0xf// 000000007A68: 10526CFA FF015812
	v_mul_u32_u24_dpp v42, v18, v54 row_newbcast:12 row_mask:0xf bank_mask:0xf// 000000007A70: 10546CFA FF015C12
	v_add_u32_e32 v27, v39, v6                                 // 000000007A78: 68360D27
	v_add_u32_e32 v28, v40, v6                                 // 000000007A7C: 68380D28
	v_add_u32_e32 v29, v41, v6                                 // 000000007A80: 683A0D29
	v_add_u32_e32 v30, v42, v6                                 // 000000007A84: 683C0D2A
	v_mul_u32_u24_dpp v39, v18, v54 row_newbcast:1 row_mask:0xf bank_mask:0xf// 000000007A88: 104E6CFA FF015112
	v_mul_u32_u24_dpp v40, v18, v54 row_newbcast:2 row_mask:0xf bank_mask:0xf// 000000007A90: 10506CFA FF015212
	v_mul_u32_u24_dpp v41, v18, v54 row_newbcast:5 row_mask:0xf bank_mask:0xf// 000000007A98: 10526CFA FF015512
	v_mul_u32_u24_dpp v42, v18, v54 row_newbcast:6 row_mask:0xf bank_mask:0xf// 000000007AA0: 10546CFA FF015612
	v_add_u32_e32 v200, v39, v7                                // 000000007AA8: 69900F27
	v_add_u32_e32 v201, v40, v7                                // 000000007AAC: 69920F28
	v_add_u32_e32 v202, v41, v7                                // 000000007AB0: 69940F29
	v_add_u32_e32 v203, v42, v7                                // 000000007AB4: 69960F2A
	v_mul_u32_u24_dpp v39, v18, v54 row_newbcast:9 row_mask:0xf bank_mask:0xf// 000000007AB8: 104E6CFA FF015912
	v_mul_u32_u24_dpp v40, v18, v54 row_newbcast:10 row_mask:0xf bank_mask:0xf// 000000007AC0: 10506CFA FF015A12
	v_mul_u32_u24_dpp v41, v18, v54 row_newbcast:13 row_mask:0xf bank_mask:0xf// 000000007AC8: 10526CFA FF015D12
	v_mul_u32_u24_dpp v42, v18, v54 row_newbcast:7 row_mask:0xf bank_mask:0xf// 000000007AD0: 10546CFA FF015712
	v_add_u32_e32 v204, v39, v7                                // 000000007AD8: 69980F27
	v_add_u32_e32 v205, v40, v7                                // 000000007ADC: 699A0F28
	v_add_u32_e32 v206, v41, v7                                // 000000007AE0: 699C0F29
	v_add_u32_e32 v207, v42, v7                                // 000000007AE4: 699E0F2A
	v_add_u32_e32 v1, s56, v1                                  // 000000007AE8: 68020238
	s_addk_i32 s70, 0x100                                      // 000000007AEC: B7460100
	s_cmp_lt_i32 s70, s71                                      // 000000007AF0: BF044746
	s_cbranch_scc0 label_1640                                  // 000000007AF4: BF840001
	s_branch label_1103                                        // 000000007AF8: BF82FAC3

0000000000007afc <label_1640>:
	s_nop 0                                                    // 000000007AFC: BF800000
	s_nop 0                                                    // 000000007B00: BF800000
	s_branch label_1B80                                        // 000000007B04: BF82053D

0000000000007b08 <label_1643>:
	s_waitcnt vmcnt(16) lgkmcnt(0)                             // 000000007B08: BF8C4070
	v_mfma_f32_16x16x16_bf16 v[112:115], a[0:1], v[80:81], 0   // 000000007B0C: D3E10070 0A02A100
	buffer_load_dwordx4 a[64:67], v27, s[16:19], 0 offen       // 000000007B14: E05C1000 8084401B
	v_mfma_f32_16x16x16_bf16 v[112:115], a[2:3], v[82:83], v[112:115]// 000000007B1C: D3E10070 0DC2A502
	v_mfma_f32_16x16x16_bf16 v[112:115], a[4:5], v[84:85], v[112:115]// 000000007B24: D3E10070 0DC2A904
	buffer_load_dword v17, v1, s[24:27], 0 offen               // 000000007B2C: E0501000 80061101
	v_mfma_f32_16x16x16_bf16 v[112:115], a[6:7], v[86:87], v[112:115]// 000000007B34: D3E10070 0DC2AD06
	v_mfma_f32_16x16x16_bf16 v[112:115], a[8:9], v[88:89], v[112:115]// 000000007B3C: D3E10070 0DC2B108
	buffer_load_dwordx4 a[68:71], v27, s[16:19], 0 offen offset:1024// 000000007B44: E05C1400 8084441B
	v_mfma_f32_16x16x16_bf16 v[112:115], a[10:11], v[90:91], v[112:115]// 000000007B4C: D3E10070 0DC2B50A
	v_mfma_f32_16x16x16_bf16 v[112:115], a[12:13], v[92:93], v[112:115]// 000000007B54: D3E10070 0DC2B90C
	v_mfma_f32_16x16x16_bf16 v[112:115], a[14:15], v[94:95], v[112:115]// 000000007B5C: D3E10070 0DC2BD0E
	v_mfma_f32_16x16x16_bf16 v[116:119], a[16:17], v[80:81], 0 // 000000007B64: D3E10074 0A02A110
	buffer_load_dwordx4 a[72:75], v27, s[16:19], 0 offen offset:2048// 000000007B6C: E05C1800 8084481B
	v_mfma_f32_16x16x16_bf16 v[116:119], a[18:19], v[82:83], v[116:119]// 000000007B74: D3E10074 0DD2A512
	v_mfma_f32_16x16x16_bf16 v[116:119], a[20:21], v[84:85], v[116:119]// 000000007B7C: D3E10074 0DD2A914
	v_mfma_f32_16x16x16_bf16 v[116:119], a[22:23], v[86:87], v[116:119]// 000000007B84: D3E10074 0DD2AD16
	v_mfma_f32_16x16x16_bf16 v[116:119], a[24:25], v[88:89], v[116:119]// 000000007B8C: D3E10074 0DD2B118
	buffer_load_dwordx4 a[76:79], v27, s[16:19], 0 offen offset:3072// 000000007B94: E05C1C00 80844C1B
	v_mfma_f32_16x16x16_bf16 v[116:119], a[26:27], v[90:91], v[116:119]// 000000007B9C: D3E10074 0DD2B51A
	v_mfma_f32_16x16x16_bf16 v[116:119], a[28:29], v[92:93], v[116:119]// 000000007BA4: D3E10074 0DD2B91C
	v_mfma_f32_16x16x16_bf16 v[116:119], a[30:31], v[94:95], v[116:119]// 000000007BAC: D3E10074 0DD2BD1E
	v_mfma_f32_16x16x16_bf16 v[120:123], a[32:33], v[80:81], 0 // 000000007BB4: D3E10078 0A02A120
	buffer_load_dwordx4 a[80:83], v28, s[16:19], 0 offen       // 000000007BBC: E05C1000 8084501C
	v_mfma_f32_16x16x16_bf16 v[120:123], a[34:35], v[82:83], v[120:123]// 000000007BC4: D3E10078 0DE2A522
	v_mfma_f32_16x16x16_bf16 v[120:123], a[36:37], v[84:85], v[120:123]// 000000007BCC: D3E10078 0DE2A924
	v_mfma_f32_16x16x16_bf16 v[120:123], a[38:39], v[86:87], v[120:123]// 000000007BD4: D3E10078 0DE2AD26
	v_mfma_f32_16x16x16_bf16 v[120:123], a[40:41], v[88:89], v[120:123]// 000000007BDC: D3E10078 0DE2B128
	buffer_load_dwordx4 a[84:87], v28, s[16:19], 0 offen offset:1024// 000000007BE4: E05C1400 8084541C
	v_mfma_f32_16x16x16_bf16 v[120:123], a[42:43], v[90:91], v[120:123]// 000000007BEC: D3E10078 0DE2B52A
	v_mfma_f32_16x16x16_bf16 v[120:123], a[44:45], v[92:93], v[120:123]// 000000007BF4: D3E10078 0DE2B92C
	v_mfma_f32_16x16x16_bf16 v[120:123], a[46:47], v[94:95], v[120:123]// 000000007BFC: D3E10078 0DE2BD2E
	v_mfma_f32_16x16x16_bf16 v[124:127], a[48:49], v[80:81], 0 // 000000007C04: D3E1007C 0A02A130
	buffer_load_dwordx4 a[88:91], v28, s[16:19], 0 offen offset:2048// 000000007C0C: E05C1800 8084581C
	v_mfma_f32_16x16x16_bf16 v[124:127], a[50:51], v[82:83], v[124:127]// 000000007C14: D3E1007C 0DF2A532
	v_mfma_f32_16x16x16_bf16 v[124:127], a[52:53], v[84:85], v[124:127]// 000000007C1C: D3E1007C 0DF2A934
	v_mfma_f32_16x16x16_bf16 v[124:127], a[54:55], v[86:87], v[124:127]// 000000007C24: D3E1007C 0DF2AD36
	v_mfma_f32_16x16x16_bf16 v[124:127], a[56:57], v[88:89], v[124:127]// 000000007C2C: D3E1007C 0DF2B138
	buffer_load_dwordx4 a[92:95], v28, s[16:19], 0 offen offset:3072// 000000007C34: E05C1C00 80845C1C
	v_mfma_f32_16x16x16_bf16 v[124:127], a[58:59], v[90:91], v[124:127]// 000000007C3C: D3E1007C 0DF2B53A
	v_mfma_f32_16x16x16_bf16 v[124:127], a[60:61], v[92:93], v[124:127]// 000000007C44: D3E1007C 0DF2B93C
	v_mfma_f32_16x16x16_bf16 v[124:127], a[62:63], v[94:95], v[124:127]// 000000007C4C: D3E1007C 0DF2BD3E
	s_cmp_le_i32 s90, s89                                      // 000000007C54: BF05595A
	s_cbranch_scc1 label_170B                                  // 000000007C58: BF850073
	v_mov_b32_e32 v55, 0xff800000                              // 000000007C5C: 7E6E02FF FF800000
	s_mov_b32 s60, s90                                         // 000000007C64: BEBC005A
	s_add_u32 s61, s89, 0xff                                   // 000000007C68: 803DFF59 000000FF
	v_mov_b32_e32 v39, s61                                     // 000000007C70: 7E4E023D
	v_lshrrev_b32_e32 v31, 4, v0                               // 000000007C74: 203E0084
	v_mul_i32_i24_e32 v31, 4, v31                              // 000000007C78: 0C3E3E84
	v_add_u32_e32 v31, s60, v31                                // 000000007C7C: 683E3E3C
	v_and_b32_e32 v40, 15, v0                                  // 000000007C80: 2650008F
	v_lshrrev_b32_e32 v40, 3, v40                              // 000000007C84: 20505083
	s_mov_b32 s61, 0                                           // 000000007C88: BEBD0080
	s_mul_i32 s60, 16, s7                                      // 000000007C8C: 923C0790
	v_add_u32_e32 v40, s61, v40                                // 000000007C90: 6850503D
	v_sub_u32_e32 v31, v31, v40                                // 000000007C94: 6A3E511F
	v_add_u32_e32 v31, s60, v31                                // 000000007C98: 683E3E3C
	v_add_u32_e32 v32, 1, v31                                  // 000000007C9C: 68403E81
	v_add_u32_e32 v33, 2, v31                                  // 000000007CA0: 68423E82
	v_add_u32_e32 v34, 3, v31                                  // 000000007CA4: 68443E83
	v_cmp_le_u32_e64 s[40:41], v31, v39                        // 000000007CA8: D0CB0028 00024F1F
	v_add_u32_e32 v31, 64, v31                                 // 000000007CB0: 683E3EC0
	s_nop 0                                                    // 000000007CB4: BF800000
	v_cndmask_b32_e64 v112, v55, v112, s[40:41]                // 000000007CB8: D1000070 00A2E137
	v_cmp_le_u32_e64 s[40:41], v32, v39                        // 000000007CC0: D0CB0028 00024F20
	v_add_u32_e32 v32, 64, v32                                 // 000000007CC8: 684040C0
	s_nop 0                                                    // 000000007CCC: BF800000
	v_cndmask_b32_e64 v113, v55, v113, s[40:41]                // 000000007CD0: D1000071 00A2E337
	v_cmp_le_u32_e64 s[40:41], v33, v39                        // 000000007CD8: D0CB0028 00024F21
	v_add_u32_e32 v33, 64, v33                                 // 000000007CE0: 684242C0
	s_nop 0                                                    // 000000007CE4: BF800000
	v_cndmask_b32_e64 v114, v55, v114, s[40:41]                // 000000007CE8: D1000072 00A2E537
	v_cmp_le_u32_e64 s[40:41], v34, v39                        // 000000007CF0: D0CB0028 00024F22
	v_add_u32_e32 v34, 64, v34                                 // 000000007CF8: 684444C0
	s_nop 0                                                    // 000000007CFC: BF800000
	v_cndmask_b32_e64 v115, v55, v115, s[40:41]                // 000000007D00: D1000073 00A2E737
	v_cmp_le_u32_e64 s[40:41], v31, v39                        // 000000007D08: D0CB0028 00024F1F
	v_add_u32_e32 v31, 64, v31                                 // 000000007D10: 683E3EC0
	s_nop 0                                                    // 000000007D14: BF800000
	v_cndmask_b32_e64 v116, v55, v116, s[40:41]                // 000000007D18: D1000074 00A2E937
	v_cmp_le_u32_e64 s[40:41], v32, v39                        // 000000007D20: D0CB0028 00024F20
	v_add_u32_e32 v32, 64, v32                                 // 000000007D28: 684040C0
	s_nop 0                                                    // 000000007D2C: BF800000
	v_cndmask_b32_e64 v117, v55, v117, s[40:41]                // 000000007D30: D1000075 00A2EB37
	v_cmp_le_u32_e64 s[40:41], v33, v39                        // 000000007D38: D0CB0028 00024F21
	v_add_u32_e32 v33, 64, v33                                 // 000000007D40: 684242C0
	s_nop 0                                                    // 000000007D44: BF800000
	v_cndmask_b32_e64 v118, v55, v118, s[40:41]                // 000000007D48: D1000076 00A2ED37
	v_cmp_le_u32_e64 s[40:41], v34, v39                        // 000000007D50: D0CB0028 00024F22
	v_add_u32_e32 v34, 64, v34                                 // 000000007D58: 684444C0
	s_nop 0                                                    // 000000007D5C: BF800000
	v_cndmask_b32_e64 v119, v55, v119, s[40:41]                // 000000007D60: D1000077 00A2EF37
	v_cmp_le_u32_e64 s[40:41], v31, v39                        // 000000007D68: D0CB0028 00024F1F
	v_add_u32_e32 v31, 64, v31                                 // 000000007D70: 683E3EC0
	s_nop 0                                                    // 000000007D74: BF800000
	v_cndmask_b32_e64 v120, v55, v120, s[40:41]                // 000000007D78: D1000078 00A2F137
	v_cmp_le_u32_e64 s[40:41], v32, v39                        // 000000007D80: D0CB0028 00024F20
	v_add_u32_e32 v32, 64, v32                                 // 000000007D88: 684040C0
	s_nop 0                                                    // 000000007D8C: BF800000
	v_cndmask_b32_e64 v121, v55, v121, s[40:41]                // 000000007D90: D1000079 00A2F337
	v_cmp_le_u32_e64 s[40:41], v33, v39                        // 000000007D98: D0CB0028 00024F21
	v_add_u32_e32 v33, 64, v33                                 // 000000007DA0: 684242C0
	s_nop 0                                                    // 000000007DA4: BF800000
	v_cndmask_b32_e64 v122, v55, v122, s[40:41]                // 000000007DA8: D100007A 00A2F537
	v_cmp_le_u32_e64 s[40:41], v34, v39                        // 000000007DB0: D0CB0028 00024F22
	v_add_u32_e32 v34, 64, v34                                 // 000000007DB8: 684444C0
	s_nop 0                                                    // 000000007DBC: BF800000
	v_cndmask_b32_e64 v123, v55, v123, s[40:41]                // 000000007DC0: D100007B 00A2F737
	v_cmp_le_u32_e64 s[40:41], v31, v39                        // 000000007DC8: D0CB0028 00024F1F
	v_add_u32_e32 v31, 64, v31                                 // 000000007DD0: 683E3EC0
	s_nop 0                                                    // 000000007DD4: BF800000
	v_cndmask_b32_e64 v124, v55, v124, s[40:41]                // 000000007DD8: D100007C 00A2F937
	v_cmp_le_u32_e64 s[40:41], v32, v39                        // 000000007DE0: D0CB0028 00024F20
	v_add_u32_e32 v32, 64, v32                                 // 000000007DE8: 684040C0
	s_nop 0                                                    // 000000007DEC: BF800000
	v_cndmask_b32_e64 v125, v55, v125, s[40:41]                // 000000007DF0: D100007D 00A2FB37
	v_cmp_le_u32_e64 s[40:41], v33, v39                        // 000000007DF8: D0CB0028 00024F21
	v_add_u32_e32 v33, 64, v33                                 // 000000007E00: 684242C0
	s_nop 0                                                    // 000000007E04: BF800000
	v_cndmask_b32_e64 v126, v55, v126, s[40:41]                // 000000007E08: D100007E 00A2FD37
	v_cmp_le_u32_e64 s[40:41], v34, v39                        // 000000007E10: D0CB0028 00024F22
	v_add_u32_e32 v34, 64, v34                                 // 000000007E18: 684444C0
	s_nop 0                                                    // 000000007E1C: BF800000
	v_cndmask_b32_e64 v127, v55, v127, s[40:41]                // 000000007E20: D100007F 00A2FF37

0000000000007e28 <label_170B>:
	s_add_u32 s90, s91, s90                                    // 000000007E28: 805A5A5B
	s_nop 0                                                    // 000000007E2C: BF800000
	buffer_load_dwordx4 a[96:99], v29, s[16:19], 0 offen       // 000000007E30: E05C1000 8084601D
	s_nop 8                                                    // 000000007E38: BF800008
	buffer_load_dwordx4 a[100:103], v29, s[16:19], 0 offen offset:1024// 000000007E3C: E05C1400 8084641D
	v_mov_b32_e32 v50, v112                                    // 000000007E44: 7E640370
	v_max3_f32 v50, v112, v113, v50                            // 000000007E48: D1D30032 04CAE370
	v_max3_f32 v50, v114, v115, v50                            // 000000007E50: D1D30032 04CAE772
	v_max3_f32 v50, v116, v117, v50                            // 000000007E58: D1D30032 04CAEB74
	v_max3_f32 v50, v118, v119, v50                            // 000000007E60: D1D30032 04CAEF76
	v_max3_f32 v50, v120, v121, v50                            // 000000007E68: D1D30032 04CAF378
	v_max3_f32 v50, v122, v123, v50                            // 000000007E70: D1D30032 04CAF77A
	v_max3_f32 v50, v124, v125, v50                            // 000000007E78: D1D30032 04CAFB7C
	v_max3_f32 v50, v126, v127, v50                            // 000000007E80: D1D30032 04CAFF7E
	ds_write_b32 v11, v50                                      // 000000007E88: D81A0000 0000320B
	buffer_load_dwordx4 a[104:107], v29, s[16:19], 0 offen offset:2048// 000000007E90: E05C1800 8084681D
	s_waitcnt lgkmcnt(0)                                       // 000000007E98: BF8CC07F
	s_barrier                                                  // 000000007E9C: BF8A0000
	ds_read_b32 v64, v10                                       // 000000007EA0: D86C0000 4000000A
	buffer_load_dwordx4 a[108:111], v29, s[16:19], 0 offen offset:3072// 000000007EA8: E05C1C00 80846C1D
	ds_read_b32 v65, v10 offset:64                             // 000000007EB0: D86C0040 4100000A
	ds_read_b32 v66, v10 offset:128                            // 000000007EB8: D86C0080 4200000A
	ds_read_b32 v67, v10 offset:192                            // 000000007EC0: D86C00C0 4300000A
	ds_read_b32 v68, v10 offset:256                            // 000000007EC8: D86C0100 4400000A
	ds_read_b32 v69, v10 offset:320                            // 000000007ED0: D86C0140 4500000A
	ds_read_b32 v70, v10 offset:384                            // 000000007ED8: D86C0180 4600000A
	ds_read_b32 v71, v10 offset:448                            // 000000007EE0: D86C01C0 4700000A
	ds_read_b32 v72, v10 offset:512                            // 000000007EE8: D86C0200 4800000A
	buffer_load_dwordx4 a[112:115], v30, s[16:19], 0 offen     // 000000007EF0: E05C1000 8084701E
	ds_read_b32 v73, v10 offset:576                            // 000000007EF8: D86C0240 4900000A
	ds_read_b32 v74, v10 offset:640                            // 000000007F00: D86C0280 4A00000A
	ds_read_b32 v75, v10 offset:704                            // 000000007F08: D86C02C0 4B00000A
	ds_read_b32 v76, v10 offset:768                            // 000000007F10: D86C0300 4C00000A
	ds_read_b32 v77, v10 offset:832                            // 000000007F18: D86C0340 4D00000A
	ds_read_b32 v78, v10 offset:896                            // 000000007F20: D86C0380 4E00000A
	ds_read_b32 v79, v10 offset:960                            // 000000007F28: D86C03C0 4F00000A
	buffer_load_dwordx4 a[116:119], v30, s[16:19], 0 offen offset:1024// 000000007F30: E05C1400 8084741E
	buffer_load_dwordx4 a[120:123], v30, s[16:19], 0 offen offset:2048// 000000007F38: E05C1800 8084781E
	s_waitcnt lgkmcnt(0)                                       // 000000007F40: BF8CC07F
	v_max3_f32 v50, v64, v65, v50                              // 000000007F44: D1D30032 04CA8340
	v_max3_f32 v50, v66, v67, v50                              // 000000007F4C: D1D30032 04CA8742
	v_max3_f32 v50, v68, v69, v50                              // 000000007F54: D1D30032 04CA8B44
	v_max3_f32 v50, v70, v71, v50                              // 000000007F5C: D1D30032 04CA8F46
	v_max3_f32 v50, v72, v73, v50                              // 000000007F64: D1D30032 04CA9348
	v_max3_f32 v50, v74, v75, v50                              // 000000007F6C: D1D30032 04CA974A
	v_max3_f32 v50, v76, v77, v50                              // 000000007F74: D1D30032 04CA9B4C
	v_max3_f32 v50, v78, v79, v50                              // 000000007F7C: D1D30032 04CA9F4E
	buffer_load_dwordx4 a[124:127], v30, s[16:19], 0 offen offset:3072// 000000007F84: E05C1C00 80847C1E
	v_cmp_eq_u32_e64 s[40:41], v55, v14                        // 000000007F8C: D0CA0028 00021D37
	s_nop 1                                                    // 000000007F94: BF800001
	v_max_f32_e32 v16, v50, v14                                // 000000007F98: 16201D32
	v_sub_f32_e32 v51, v14, v16                                // 000000007F9C: 0466210E
	v_cndmask_b32_e64 v51, v51, 0, s[40:41]                    // 000000007FA0: D1000033 00A10133
	v_mov_b32_e32 v14, v16                                     // 000000007FA8: 7E1C0310
	v_mul_f32_e32 v53, s64, v16                                // 000000007FAC: 0A6A2040
	v_mul_f32_e32 v51, s64, v51                                // 000000007FB0: 0A666640
	v_exp_f32_e32 v51, v51                                     // 000000007FB4: 7E664133
	buffer_load_dwordx4 a[192:195], v200, s[20:23], 0 offen    // 000000007FB8: E05C1000 8085C0C8
	v_fma_f32 v112, v112, s64, -v53                            // 000000007FC0: D1CB0070 84D48170
	v_fma_f32 v113, v113, s64, -v53                            // 000000007FC8: D1CB0071 84D48171
	v_fma_f32 v114, v114, s64, -v53                            // 000000007FD0: D1CB0072 84D48172
	v_fma_f32 v115, v115, s64, -v53                            // 000000007FD8: D1CB0073 84D48173
	v_fma_f32 v116, v116, s64, -v53                            // 000000007FE0: D1CB0074 84D48174
	v_fma_f32 v117, v117, s64, -v53                            // 000000007FE8: D1CB0075 84D48175
	v_fma_f32 v118, v118, s64, -v53                            // 000000007FF0: D1CB0076 84D48176
	v_fma_f32 v119, v119, s64, -v53                            // 000000007FF8: D1CB0077 84D48177
	v_fma_f32 v120, v120, s64, -v53                            // 000000008000: D1CB0078 84D48178
	v_fma_f32 v121, v121, s64, -v53                            // 000000008008: D1CB0079 84D48179
	v_fma_f32 v122, v122, s64, -v53                            // 000000008010: D1CB007A 84D4817A
	v_fma_f32 v123, v123, s64, -v53                            // 000000008018: D1CB007B 84D4817B
	v_fma_f32 v124, v124, s64, -v53                            // 000000008020: D1CB007C 84D4817C
	v_fma_f32 v125, v125, s64, -v53                            // 000000008028: D1CB007D 84D4817D
	v_fma_f32 v126, v126, s64, -v53                            // 000000008030: D1CB007E 84D4817E
	v_fma_f32 v127, v127, s64, -v53                            // 000000008038: D1CB007F 84D4817F
	v_exp_f32_e32 v112, v112                                   // 000000008040: 7EE04170
	v_exp_f32_e32 v113, v113                                   // 000000008044: 7EE24171
	v_exp_f32_e32 v114, v114                                   // 000000008048: 7EE44172
	v_exp_f32_e32 v115, v115                                   // 00000000804C: 7EE64173
	v_exp_f32_e32 v116, v116                                   // 000000008050: 7EE84174
	v_exp_f32_e32 v117, v117                                   // 000000008054: 7EEA4175
	v_exp_f32_e32 v118, v118                                   // 000000008058: 7EEC4176
	v_exp_f32_e32 v119, v119                                   // 00000000805C: 7EEE4177
	v_exp_f32_e32 v120, v120                                   // 000000008060: 7EF04178
	v_exp_f32_e32 v121, v121                                   // 000000008064: 7EF24179
	v_exp_f32_e32 v122, v122                                   // 000000008068: 7EF4417A
	v_exp_f32_e32 v123, v123                                   // 00000000806C: 7EF6417B
	v_exp_f32_e32 v124, v124                                   // 000000008070: 7EF8417C
	v_exp_f32_e32 v125, v125                                   // 000000008074: 7EFA417D
	v_exp_f32_e32 v126, v126                                   // 000000008078: 7EFC417E
	v_exp_f32_e32 v127, v127                                   // 00000000807C: 7EFE417F
	buffer_load_dwordx4 a[196:199], v201, s[20:23], 0 offen    // 000000008080: E05C1000 8085C4C9
	v_mul_f32_e32 v43, v51, v43                                // 000000008088: 0A565733
	v_mov_b32_e32 v45, v112                                    // 00000000808C: 7E5A0370
	v_add_f32_e32 v45, v113, v45                               // 000000008090: 025A5B71
	v_add_f32_e32 v45, v114, v45                               // 000000008094: 025A5B72
	v_add_f32_e32 v45, v115, v45                               // 000000008098: 025A5B73
	v_add_f32_e32 v45, v116, v45                               // 00000000809C: 025A5B74
	v_add_f32_e32 v45, v117, v45                               // 0000000080A0: 025A5B75
	v_add_f32_e32 v45, v118, v45                               // 0000000080A4: 025A5B76
	v_add_f32_e32 v45, v119, v45                               // 0000000080A8: 025A5B77
	v_add_f32_e32 v45, v120, v45                               // 0000000080AC: 025A5B78
	v_add_f32_e32 v45, v121, v45                               // 0000000080B0: 025A5B79
	v_add_f32_e32 v45, v122, v45                               // 0000000080B4: 025A5B7A
	v_add_f32_e32 v45, v123, v45                               // 0000000080B8: 025A5B7B
	v_add_f32_e32 v45, v124, v45                               // 0000000080BC: 025A5B7C
	v_add_f32_e32 v45, v125, v45                               // 0000000080C0: 025A5B7D
	v_add_f32_e32 v45, v126, v45                               // 0000000080C4: 025A5B7E
	v_add_f32_e32 v45, v127, v45                               // 0000000080C8: 025A5B7F
	v_add_f32_e32 v43, v45, v43                                // 0000000080CC: 0256572D
	buffer_load_dwordx4 a[200:203], v202, s[20:23], 0 offen    // 0000000080D0: E05C1000 8085C8CA
	v_cmp_u_f32_e64 s[40:41], v112, v112                       // 0000000080D8: D0480028 0002E170
	v_add3_u32 v19, v112, v22, 1                               // 0000000080E0: D1FF0013 02062D70
	v_cndmask_b32_e64 v39, v19, v21, s[40:41]                  // 0000000080E8: D1000027 00A22B13
	v_cmp_u_f32_e64 s[40:41], v113, v113                       // 0000000080F0: D0480028 0002E371
	v_add3_u32 v19, v113, v22, 1                               // 0000000080F8: D1FF0013 02062D71
	v_cndmask_b32_e64 v40, v19, v21, s[40:41]                  // 000000008100: D1000028 00A22B13
	v_perm_b32 v112, v40, v39, s52                             // 000000008108: D1ED0070 00D24F28
	v_cmp_u_f32_e64 s[40:41], v114, v114                       // 000000008110: D0480028 0002E572
	v_add3_u32 v19, v114, v22, 1                               // 000000008118: D1FF0013 02062D72
	v_cndmask_b32_e64 v39, v19, v21, s[40:41]                  // 000000008120: D1000027 00A22B13
	v_cmp_u_f32_e64 s[40:41], v115, v115                       // 000000008128: D0480028 0002E773
	v_add3_u32 v19, v115, v22, 1                               // 000000008130: D1FF0013 02062D73
	v_cndmask_b32_e64 v40, v19, v21, s[40:41]                  // 000000008138: D1000028 00A22B13
	v_perm_b32 v113, v40, v39, s52                             // 000000008140: D1ED0071 00D24F28
	v_cmp_u_f32_e64 s[40:41], v116, v116                       // 000000008148: D0480028 0002E974
	v_add3_u32 v19, v116, v22, 1                               // 000000008150: D1FF0013 02062D74
	v_cndmask_b32_e64 v39, v19, v21, s[40:41]                  // 000000008158: D1000027 00A22B13
	v_cmp_u_f32_e64 s[40:41], v117, v117                       // 000000008160: D0480028 0002EB75
	v_add3_u32 v19, v117, v22, 1                               // 000000008168: D1FF0013 02062D75
	v_cndmask_b32_e64 v40, v19, v21, s[40:41]                  // 000000008170: D1000028 00A22B13
	v_perm_b32 v114, v40, v39, s52                             // 000000008178: D1ED0072 00D24F28
	v_cmp_u_f32_e64 s[40:41], v118, v118                       // 000000008180: D0480028 0002ED76
	v_add3_u32 v19, v118, v22, 1                               // 000000008188: D1FF0013 02062D76
	v_cndmask_b32_e64 v39, v19, v21, s[40:41]                  // 000000008190: D1000027 00A22B13
	v_cmp_u_f32_e64 s[40:41], v119, v119                       // 000000008198: D0480028 0002EF77
	v_add3_u32 v19, v119, v22, 1                               // 0000000081A0: D1FF0013 02062D77
	v_cndmask_b32_e64 v40, v19, v21, s[40:41]                  // 0000000081A8: D1000028 00A22B13
	v_perm_b32 v115, v40, v39, s52                             // 0000000081B0: D1ED0073 00D24F28
	v_cmp_u_f32_e64 s[40:41], v120, v120                       // 0000000081B8: D0480028 0002F178
	v_add3_u32 v19, v120, v22, 1                               // 0000000081C0: D1FF0013 02062D78
	v_cndmask_b32_e64 v39, v19, v21, s[40:41]                  // 0000000081C8: D1000027 00A22B13
	v_cmp_u_f32_e64 s[40:41], v121, v121                       // 0000000081D0: D0480028 0002F379
	v_add3_u32 v19, v121, v22, 1                               // 0000000081D8: D1FF0013 02062D79
	v_cndmask_b32_e64 v40, v19, v21, s[40:41]                  // 0000000081E0: D1000028 00A22B13
	v_perm_b32 v116, v40, v39, s52                             // 0000000081E8: D1ED0074 00D24F28
	v_cmp_u_f32_e64 s[40:41], v122, v122                       // 0000000081F0: D0480028 0002F57A
	v_add3_u32 v19, v122, v22, 1                               // 0000000081F8: D1FF0013 02062D7A
	v_cndmask_b32_e64 v39, v19, v21, s[40:41]                  // 000000008200: D1000027 00A22B13
	v_cmp_u_f32_e64 s[40:41], v123, v123                       // 000000008208: D0480028 0002F77B
	v_add3_u32 v19, v123, v22, 1                               // 000000008210: D1FF0013 02062D7B
	v_cndmask_b32_e64 v40, v19, v21, s[40:41]                  // 000000008218: D1000028 00A22B13
	v_perm_b32 v117, v40, v39, s52                             // 000000008220: D1ED0075 00D24F28
	v_cmp_u_f32_e64 s[40:41], v124, v124                       // 000000008228: D0480028 0002F97C
	v_add3_u32 v19, v124, v22, 1                               // 000000008230: D1FF0013 02062D7C
	v_cndmask_b32_e64 v39, v19, v21, s[40:41]                  // 000000008238: D1000027 00A22B13
	v_cmp_u_f32_e64 s[40:41], v125, v125                       // 000000008240: D0480028 0002FB7D
	v_add3_u32 v19, v125, v22, 1                               // 000000008248: D1FF0013 02062D7D
	v_cndmask_b32_e64 v40, v19, v21, s[40:41]                  // 000000008250: D1000028 00A22B13
	v_perm_b32 v118, v40, v39, s52                             // 000000008258: D1ED0076 00D24F28
	v_cmp_u_f32_e64 s[40:41], v126, v126                       // 000000008260: D0480028 0002FD7E
	v_add3_u32 v19, v126, v22, 1                               // 000000008268: D1FF0013 02062D7E
	v_cndmask_b32_e64 v39, v19, v21, s[40:41]                  // 000000008270: D1000027 00A22B13
	v_cmp_u_f32_e64 s[40:41], v127, v127                       // 000000008278: D0480028 0002FF7F
	v_add3_u32 v19, v127, v22, 1                               // 000000008280: D1FF0013 02062D7F
	v_cndmask_b32_e64 v40, v19, v21, s[40:41]                  // 000000008288: D1000028 00A22B13
	v_perm_b32 v119, v40, v39, s52                             // 000000008290: D1ED0077 00D24F28
	buffer_load_dwordx4 a[204:207], v203, s[20:23], 0 offen    // 000000008298: E05C1000 8085CCCB
	buffer_load_dwordx4 a[208:211], v204, s[20:23], 0 offen    // 0000000082A0: E05C1000 8085D0CC
	ds_write_b64 v13, v[112:113] offset:4096                   // 0000000082A8: D89A1000 0000700D
	ds_write_b64 v13, v[114:115] offset:6144                   // 0000000082B0: D89A1800 0000720D
	ds_write_b64 v13, v[116:117] offset:8192                   // 0000000082B8: D89A2000 0000740D
	ds_write_b64 v13, v[118:119] offset:10240                  // 0000000082C0: D89A2800 0000760D
	buffer_load_dwordx4 a[212:215], v205, s[20:23], 0 offen    // 0000000082C8: E05C1000 8085D4CD
	s_waitcnt lgkmcnt(0)                                       // 0000000082D0: BF8CC07F
	s_barrier                                                  // 0000000082D4: BF8A0000
	ds_read_b64 v[112:113], v12 offset:4096                    // 0000000082D8: D8EC1000 7000000C
	ds_read_b64 v[114:115], v12 offset:4224                    // 0000000082E0: D8EC1080 7200000C
	ds_read_b64 v[116:117], v12 offset:5120                    // 0000000082E8: D8EC1400 7400000C
	ds_read_b64 v[118:119], v12 offset:5248                    // 0000000082F0: D8EC1480 7600000C
	ds_read_b64 v[120:121], v12 offset:6144                    // 0000000082F8: D8EC1800 7800000C
	ds_read_b64 v[122:123], v12 offset:6272                    // 000000008300: D8EC1880 7A00000C
	ds_read_b64 v[124:125], v12 offset:7168                    // 000000008308: D8EC1C00 7C00000C
	ds_read_b64 v[126:127], v12 offset:7296                    // 000000008310: D8EC1C80 7E00000C
	ds_read_b64 v[128:129], v12 offset:8192                    // 000000008318: D8EC2000 8000000C
	ds_read_b64 v[130:131], v12 offset:8320                    // 000000008320: D8EC2080 8200000C
	ds_read_b64 v[132:133], v12 offset:9216                    // 000000008328: D8EC2400 8400000C
	ds_read_b64 v[134:135], v12 offset:9344                    // 000000008330: D8EC2480 8600000C
	ds_read_b64 v[136:137], v12 offset:10240                   // 000000008338: D8EC2800 8800000C
	ds_read_b64 v[138:139], v12 offset:10368                   // 000000008340: D8EC2880 8A00000C
	ds_read_b64 v[140:141], v12 offset:11264                   // 000000008348: D8EC2C00 8C00000C
	ds_read_b64 v[142:143], v12 offset:11392                   // 000000008350: D8EC2C80 8E00000C
	buffer_load_dwordx4 a[216:219], v206, s[20:23], 0 offen    // 000000008358: E05C1000 8085D8CE
	buffer_load_dwordx4 a[220:223], v207, s[20:23], 0 offen    // 000000008360: E05C1000 8085DCCF
	s_waitcnt lgkmcnt(0)                                       // 000000008368: BF8CC07F
	v_mul_f32_e32 v176, v51, v176                              // 00000000836C: 0B616133
	v_mul_f32_e32 v177, v51, v177                              // 000000008370: 0B636333
	v_mul_f32_e32 v178, v51, v178                              // 000000008374: 0B656533
	v_mul_f32_e32 v179, v51, v179                              // 000000008378: 0B676733
	v_mul_f32_e32 v180, v51, v180                              // 00000000837C: 0B696933
	v_mul_f32_e32 v181, v51, v181                              // 000000008380: 0B6B6B33
	v_mul_f32_e32 v182, v51, v182                              // 000000008384: 0B6D6D33
	v_mul_f32_e32 v183, v51, v183                              // 000000008388: 0B6F6F33
	s_waitcnt vmcnt(24)                                        // 00000000838C: BF8C4F78
	v_mfma_f32_16x16x16_bf16 v[176:179], a[128:129], v[112:113], v[176:179]// 000000008390: D3E100B0 0EC2E180
	buffer_load_dwordx4 a[224:227], v200, s[20:23], 0 offen offset:1024// 000000008398: E05C1400 8085E0C8
	v_mfma_f32_16x16x16_bf16 v[176:179], a[130:131], v[114:115], v[176:179]// 0000000083A0: D3E100B0 0EC2E582
	v_mfma_f32_16x16x16_bf16 v[176:179], a[132:133], v[116:117], v[176:179]// 0000000083A8: D3E100B0 0EC2E984
	v_mfma_f32_16x16x16_bf16 v[176:179], a[134:135], v[118:119], v[176:179]// 0000000083B0: D3E100B0 0EC2ED86
	v_mfma_f32_16x16x16_bf16 v[176:179], a[136:137], v[120:121], v[176:179]// 0000000083B8: D3E100B0 0EC2F188
	buffer_load_dwordx4 a[228:231], v201, s[20:23], 0 offen offset:1024// 0000000083C0: E05C1400 8085E4C9
	v_mfma_f32_16x16x16_bf16 v[176:179], a[138:139], v[122:123], v[176:179]// 0000000083C8: D3E100B0 0EC2F58A
	v_mfma_f32_16x16x16_bf16 v[176:179], a[140:141], v[124:125], v[176:179]// 0000000083D0: D3E100B0 0EC2F98C
	v_mfma_f32_16x16x16_bf16 v[176:179], a[142:143], v[126:127], v[176:179]// 0000000083D8: D3E100B0 0EC2FD8E
	v_mfma_f32_16x16x16_bf16 v[176:179], a[144:145], v[128:129], v[176:179]// 0000000083E0: D3E100B0 0EC30190
	buffer_load_dwordx4 a[232:235], v202, s[20:23], 0 offen offset:1024// 0000000083E8: E05C1400 8085E8CA
	v_mfma_f32_16x16x16_bf16 v[176:179], a[146:147], v[130:131], v[176:179]// 0000000083F0: D3E100B0 0EC30592
	v_mfma_f32_16x16x16_bf16 v[176:179], a[148:149], v[132:133], v[176:179]// 0000000083F8: D3E100B0 0EC30994
	v_mfma_f32_16x16x16_bf16 v[176:179], a[150:151], v[134:135], v[176:179]// 000000008400: D3E100B0 0EC30D96
	v_mfma_f32_16x16x16_bf16 v[176:179], a[152:153], v[136:137], v[176:179]// 000000008408: D3E100B0 0EC31198
	buffer_load_dwordx4 a[236:239], v203, s[20:23], 0 offen offset:1024// 000000008410: E05C1400 8085ECCB
	v_mfma_f32_16x16x16_bf16 v[176:179], a[154:155], v[138:139], v[176:179]// 000000008418: D3E100B0 0EC3159A
	v_mfma_f32_16x16x16_bf16 v[176:179], a[156:157], v[140:141], v[176:179]// 000000008420: D3E100B0 0EC3199C
	v_mfma_f32_16x16x16_bf16 v[176:179], a[158:159], v[142:143], v[176:179]// 000000008428: D3E100B0 0EC31D9E
	v_mfma_f32_16x16x16_bf16 v[180:183], a[160:161], v[112:113], v[180:183]// 000000008430: D3E100B4 0ED2E1A0
	buffer_load_dwordx4 a[240:243], v204, s[20:23], 0 offen offset:1024// 000000008438: E05C1400 8085F0CC
	v_mfma_f32_16x16x16_bf16 v[180:183], a[162:163], v[114:115], v[180:183]// 000000008440: D3E100B4 0ED2E5A2
	v_mfma_f32_16x16x16_bf16 v[180:183], a[164:165], v[116:117], v[180:183]// 000000008448: D3E100B4 0ED2E9A4
	v_mfma_f32_16x16x16_bf16 v[180:183], a[166:167], v[118:119], v[180:183]// 000000008450: D3E100B4 0ED2EDA6
	v_mfma_f32_16x16x16_bf16 v[180:183], a[168:169], v[120:121], v[180:183]// 000000008458: D3E100B4 0ED2F1A8
	buffer_load_dwordx4 a[244:247], v205, s[20:23], 0 offen offset:1024// 000000008460: E05C1400 8085F4CD
	v_mfma_f32_16x16x16_bf16 v[180:183], a[170:171], v[122:123], v[180:183]// 000000008468: D3E100B4 0ED2F5AA
	v_mfma_f32_16x16x16_bf16 v[180:183], a[172:173], v[124:125], v[180:183]// 000000008470: D3E100B4 0ED2F9AC
	v_mfma_f32_16x16x16_bf16 v[180:183], a[174:175], v[126:127], v[180:183]// 000000008478: D3E100B4 0ED2FDAE
	v_mfma_f32_16x16x16_bf16 v[180:183], a[176:177], v[128:129], v[180:183]// 000000008480: D3E100B4 0ED301B0
	buffer_load_dwordx4 a[248:251], v206, s[20:23], 0 offen offset:1024// 000000008488: E05C1400 8085F8CE
	v_mfma_f32_16x16x16_bf16 v[180:183], a[178:179], v[130:131], v[180:183]// 000000008490: D3E100B4 0ED305B2
	v_mfma_f32_16x16x16_bf16 v[180:183], a[180:181], v[132:133], v[180:183]// 000000008498: D3E100B4 0ED309B4
	v_mfma_f32_16x16x16_bf16 v[180:183], a[182:183], v[134:135], v[180:183]// 0000000084A0: D3E100B4 0ED30DB6
	v_mfma_f32_16x16x16_bf16 v[180:183], a[184:185], v[136:137], v[180:183]// 0000000084A8: D3E100B4 0ED311B8
	buffer_load_dwordx4 a[252:255], v207, s[20:23], 0 offen offset:1024// 0000000084B0: E05C1400 8085FCCF
	v_mfma_f32_16x16x16_bf16 v[180:183], a[186:187], v[138:139], v[180:183]// 0000000084B8: D3E100B4 0ED315BA
	v_mfma_f32_16x16x16_bf16 v[180:183], a[188:189], v[140:141], v[180:183]// 0000000084C0: D3E100B4 0ED319BC
	v_mfma_f32_16x16x16_bf16 v[180:183], a[190:191], v[142:143], v[180:183]// 0000000084C8: D3E100B4 0ED31DBE
	s_lshr_b32 s60, s70, 4                                     // 0000000084D0: 8F3C8446
	s_add_u32 s60, 48, s60                                     // 0000000084D4: 803C3CB0
	s_cmp_ge_u32 s60, s73                                      // 0000000084D8: BF09493C
	s_cselect_b32 s56, 0, s56                                  // 0000000084DC: 85383880
	v_mul_u32_u24_dpp v39, v17, v54 row_newbcast:0 row_mask:0xf bank_mask:0xf// 0000000084E0: 104E6CFA FF015011
	v_mul_u32_u24_dpp v40, v17, v54 row_newbcast:4 row_mask:0xf bank_mask:0xf// 0000000084E8: 10506CFA FF015411
	v_mul_u32_u24_dpp v41, v17, v54 row_newbcast:8 row_mask:0xf bank_mask:0xf// 0000000084F0: 10526CFA FF015811
	v_mul_u32_u24_dpp v42, v17, v54 row_newbcast:12 row_mask:0xf bank_mask:0xf// 0000000084F8: 10546CFA FF015C11
	v_add_u32_e32 v23, v39, v6                                 // 000000008500: 682E0D27
	v_add_u32_e32 v24, v40, v6                                 // 000000008504: 68300D28
	v_add_u32_e32 v25, v41, v6                                 // 000000008508: 68320D29
	v_add_u32_e32 v26, v42, v6                                 // 00000000850C: 68340D2A
	v_mul_u32_u24_dpp v39, v17, v54 row_newbcast:1 row_mask:0xf bank_mask:0xf// 000000008510: 104E6CFA FF015111
	v_mul_u32_u24_dpp v40, v17, v54 row_newbcast:2 row_mask:0xf bank_mask:0xf// 000000008518: 10506CFA FF015211
	v_mul_u32_u24_dpp v41, v17, v54 row_newbcast:5 row_mask:0xf bank_mask:0xf// 000000008520: 10526CFA FF015511
	v_mul_u32_u24_dpp v42, v17, v54 row_newbcast:6 row_mask:0xf bank_mask:0xf// 000000008528: 10546CFA FF015611
	v_add_u32_e32 v192, v39, v7                                // 000000008530: 69800F27
	v_add_u32_e32 v193, v40, v7                                // 000000008534: 69820F28
	v_add_u32_e32 v194, v41, v7                                // 000000008538: 69840F29
	v_add_u32_e32 v195, v42, v7                                // 00000000853C: 69860F2A
	v_mul_u32_u24_dpp v39, v17, v54 row_newbcast:9 row_mask:0xf bank_mask:0xf// 000000008540: 104E6CFA FF015911
	v_mul_u32_u24_dpp v40, v17, v54 row_newbcast:10 row_mask:0xf bank_mask:0xf// 000000008548: 10506CFA FF015A11
	v_mul_u32_u24_dpp v41, v17, v54 row_newbcast:13 row_mask:0xf bank_mask:0xf// 000000008550: 10526CFA FF015D11
	v_mul_u32_u24_dpp v42, v17, v54 row_newbcast:7 row_mask:0xf bank_mask:0xf// 000000008558: 10546CFA FF015711
	v_add_u32_e32 v196, v39, v7                                // 000000008560: 69880F27
	v_add_u32_e32 v197, v40, v7                                // 000000008564: 698A0F28
	v_add_u32_e32 v198, v41, v7                                // 000000008568: 698C0F29
	v_add_u32_e32 v199, v42, v7                                // 00000000856C: 698E0F2A
	v_add_u32_e32 v1, s56, v1                                  // 000000008570: 68020238
	s_addk_i32 s70, 0x100                                      // 000000008574: B7460100
	s_cmp_lt_i32 s70, s71                                      // 000000008578: BF044746
	s_cbranch_scc0 label_1640                                  // 00000000857C: BF84FD5F
	s_waitcnt vmcnt(16) lgkmcnt(0)                             // 000000008580: BF8C4070
	v_mfma_f32_16x16x16_bf16 v[112:115], a[64:65], v[80:81], 0 // 000000008584: D3E10070 0A02A140
	buffer_load_dwordx4 a[0:3], v23, s[16:19], 0 offen         // 00000000858C: E05C1000 80840017
	v_mfma_f32_16x16x16_bf16 v[112:115], a[66:67], v[82:83], v[112:115]// 000000008594: D3E10070 0DC2A542
	v_mfma_f32_16x16x16_bf16 v[112:115], a[68:69], v[84:85], v[112:115]// 00000000859C: D3E10070 0DC2A944
	buffer_load_dword v18, v1, s[24:27], 0 offen               // 0000000085A4: E0501000 80061201
	v_mfma_f32_16x16x16_bf16 v[112:115], a[70:71], v[86:87], v[112:115]// 0000000085AC: D3E10070 0DC2AD46
	v_mfma_f32_16x16x16_bf16 v[112:115], a[72:73], v[88:89], v[112:115]// 0000000085B4: D3E10070 0DC2B148
	buffer_load_dwordx4 a[4:7], v23, s[16:19], 0 offen offset:1024// 0000000085BC: E05C1400 80840417
	v_mfma_f32_16x16x16_bf16 v[112:115], a[74:75], v[90:91], v[112:115]// 0000000085C4: D3E10070 0DC2B54A
	v_mfma_f32_16x16x16_bf16 v[112:115], a[76:77], v[92:93], v[112:115]// 0000000085CC: D3E10070 0DC2B94C
	v_mfma_f32_16x16x16_bf16 v[112:115], a[78:79], v[94:95], v[112:115]// 0000000085D4: D3E10070 0DC2BD4E
	v_mfma_f32_16x16x16_bf16 v[116:119], a[80:81], v[80:81], 0 // 0000000085DC: D3E10074 0A02A150
	buffer_load_dwordx4 a[8:11], v23, s[16:19], 0 offen offset:2048// 0000000085E4: E05C1800 80840817
	v_mfma_f32_16x16x16_bf16 v[116:119], a[82:83], v[82:83], v[116:119]// 0000000085EC: D3E10074 0DD2A552
	v_mfma_f32_16x16x16_bf16 v[116:119], a[84:85], v[84:85], v[116:119]// 0000000085F4: D3E10074 0DD2A954
	v_mfma_f32_16x16x16_bf16 v[116:119], a[86:87], v[86:87], v[116:119]// 0000000085FC: D3E10074 0DD2AD56
	v_mfma_f32_16x16x16_bf16 v[116:119], a[88:89], v[88:89], v[116:119]// 000000008604: D3E10074 0DD2B158
	buffer_load_dwordx4 a[12:15], v23, s[16:19], 0 offen offset:3072// 00000000860C: E05C1C00 80840C17
	v_mfma_f32_16x16x16_bf16 v[116:119], a[90:91], v[90:91], v[116:119]// 000000008614: D3E10074 0DD2B55A
	v_mfma_f32_16x16x16_bf16 v[116:119], a[92:93], v[92:93], v[116:119]// 00000000861C: D3E10074 0DD2B95C
	v_mfma_f32_16x16x16_bf16 v[116:119], a[94:95], v[94:95], v[116:119]// 000000008624: D3E10074 0DD2BD5E
	v_mfma_f32_16x16x16_bf16 v[120:123], a[96:97], v[80:81], 0 // 00000000862C: D3E10078 0A02A160
	buffer_load_dwordx4 a[16:19], v24, s[16:19], 0 offen       // 000000008634: E05C1000 80841018
	v_mfma_f32_16x16x16_bf16 v[120:123], a[98:99], v[82:83], v[120:123]// 00000000863C: D3E10078 0DE2A562
	v_mfma_f32_16x16x16_bf16 v[120:123], a[100:101], v[84:85], v[120:123]// 000000008644: D3E10078 0DE2A964
	v_mfma_f32_16x16x16_bf16 v[120:123], a[102:103], v[86:87], v[120:123]// 00000000864C: D3E10078 0DE2AD66
	v_mfma_f32_16x16x16_bf16 v[120:123], a[104:105], v[88:89], v[120:123]// 000000008654: D3E10078 0DE2B168
	buffer_load_dwordx4 a[20:23], v24, s[16:19], 0 offen offset:1024// 00000000865C: E05C1400 80841418
	v_mfma_f32_16x16x16_bf16 v[120:123], a[106:107], v[90:91], v[120:123]// 000000008664: D3E10078 0DE2B56A
	v_mfma_f32_16x16x16_bf16 v[120:123], a[108:109], v[92:93], v[120:123]// 00000000866C: D3E10078 0DE2B96C
	v_mfma_f32_16x16x16_bf16 v[120:123], a[110:111], v[94:95], v[120:123]// 000000008674: D3E10078 0DE2BD6E
	v_mfma_f32_16x16x16_bf16 v[124:127], a[112:113], v[80:81], 0// 00000000867C: D3E1007C 0A02A170
	buffer_load_dwordx4 a[24:27], v24, s[16:19], 0 offen offset:2048// 000000008684: E05C1800 80841818
	v_mfma_f32_16x16x16_bf16 v[124:127], a[114:115], v[82:83], v[124:127]// 00000000868C: D3E1007C 0DF2A572
	v_mfma_f32_16x16x16_bf16 v[124:127], a[116:117], v[84:85], v[124:127]// 000000008694: D3E1007C 0DF2A974
	v_mfma_f32_16x16x16_bf16 v[124:127], a[118:119], v[86:87], v[124:127]// 00000000869C: D3E1007C 0DF2AD76
	v_mfma_f32_16x16x16_bf16 v[124:127], a[120:121], v[88:89], v[124:127]// 0000000086A4: D3E1007C 0DF2B178
	buffer_load_dwordx4 a[28:31], v24, s[16:19], 0 offen offset:3072// 0000000086AC: E05C1C00 80841C18
	v_mfma_f32_16x16x16_bf16 v[124:127], a[122:123], v[90:91], v[124:127]// 0000000086B4: D3E1007C 0DF2B57A
	v_mfma_f32_16x16x16_bf16 v[124:127], a[124:125], v[92:93], v[124:127]// 0000000086BC: D3E1007C 0DF2B97C
	v_mfma_f32_16x16x16_bf16 v[124:127], a[126:127], v[94:95], v[124:127]// 0000000086C4: D3E1007C 0DF2BD7E
	s_cmp_le_i32 s90, s89                                      // 0000000086CC: BF05595A
	s_cbranch_scc1 label_19A9                                  // 0000000086D0: BF850073
	v_mov_b32_e32 v55, 0xff800000                              // 0000000086D4: 7E6E02FF FF800000
	s_mov_b32 s60, s90                                         // 0000000086DC: BEBC005A
	s_add_u32 s61, s89, 0xff                                   // 0000000086E0: 803DFF59 000000FF
	v_mov_b32_e32 v39, s61                                     // 0000000086E8: 7E4E023D
	v_lshrrev_b32_e32 v31, 4, v0                               // 0000000086EC: 203E0084
	v_mul_i32_i24_e32 v31, 4, v31                              // 0000000086F0: 0C3E3E84
	v_add_u32_e32 v31, s60, v31                                // 0000000086F4: 683E3E3C
	v_and_b32_e32 v40, 15, v0                                  // 0000000086F8: 2650008F
	v_lshrrev_b32_e32 v40, 3, v40                              // 0000000086FC: 20505083
	s_mov_b32 s61, 0                                           // 000000008700: BEBD0080
	s_mul_i32 s60, 16, s7                                      // 000000008704: 923C0790
	v_add_u32_e32 v40, s61, v40                                // 000000008708: 6850503D
	v_sub_u32_e32 v31, v31, v40                                // 00000000870C: 6A3E511F
	v_add_u32_e32 v31, s60, v31                                // 000000008710: 683E3E3C
	v_add_u32_e32 v32, 1, v31                                  // 000000008714: 68403E81
	v_add_u32_e32 v33, 2, v31                                  // 000000008718: 68423E82
	v_add_u32_e32 v34, 3, v31                                  // 00000000871C: 68443E83
	v_cmp_le_u32_e64 s[40:41], v31, v39                        // 000000008720: D0CB0028 00024F1F
	v_add_u32_e32 v31, 64, v31                                 // 000000008728: 683E3EC0
	s_nop 0                                                    // 00000000872C: BF800000
	v_cndmask_b32_e64 v112, v55, v112, s[40:41]                // 000000008730: D1000070 00A2E137
	v_cmp_le_u32_e64 s[40:41], v32, v39                        // 000000008738: D0CB0028 00024F20
	v_add_u32_e32 v32, 64, v32                                 // 000000008740: 684040C0
	s_nop 0                                                    // 000000008744: BF800000
	v_cndmask_b32_e64 v113, v55, v113, s[40:41]                // 000000008748: D1000071 00A2E337
	v_cmp_le_u32_e64 s[40:41], v33, v39                        // 000000008750: D0CB0028 00024F21
	v_add_u32_e32 v33, 64, v33                                 // 000000008758: 684242C0
	s_nop 0                                                    // 00000000875C: BF800000
	v_cndmask_b32_e64 v114, v55, v114, s[40:41]                // 000000008760: D1000072 00A2E537
	v_cmp_le_u32_e64 s[40:41], v34, v39                        // 000000008768: D0CB0028 00024F22
	v_add_u32_e32 v34, 64, v34                                 // 000000008770: 684444C0
	s_nop 0                                                    // 000000008774: BF800000
	v_cndmask_b32_e64 v115, v55, v115, s[40:41]                // 000000008778: D1000073 00A2E737
	v_cmp_le_u32_e64 s[40:41], v31, v39                        // 000000008780: D0CB0028 00024F1F
	v_add_u32_e32 v31, 64, v31                                 // 000000008788: 683E3EC0
	s_nop 0                                                    // 00000000878C: BF800000
	v_cndmask_b32_e64 v116, v55, v116, s[40:41]                // 000000008790: D1000074 00A2E937
	v_cmp_le_u32_e64 s[40:41], v32, v39                        // 000000008798: D0CB0028 00024F20
	v_add_u32_e32 v32, 64, v32                                 // 0000000087A0: 684040C0
	s_nop 0                                                    // 0000000087A4: BF800000
	v_cndmask_b32_e64 v117, v55, v117, s[40:41]                // 0000000087A8: D1000075 00A2EB37
	v_cmp_le_u32_e64 s[40:41], v33, v39                        // 0000000087B0: D0CB0028 00024F21
	v_add_u32_e32 v33, 64, v33                                 // 0000000087B8: 684242C0
	s_nop 0                                                    // 0000000087BC: BF800000
	v_cndmask_b32_e64 v118, v55, v118, s[40:41]                // 0000000087C0: D1000076 00A2ED37
	v_cmp_le_u32_e64 s[40:41], v34, v39                        // 0000000087C8: D0CB0028 00024F22
	v_add_u32_e32 v34, 64, v34                                 // 0000000087D0: 684444C0
	s_nop 0                                                    // 0000000087D4: BF800000
	v_cndmask_b32_e64 v119, v55, v119, s[40:41]                // 0000000087D8: D1000077 00A2EF37
	v_cmp_le_u32_e64 s[40:41], v31, v39                        // 0000000087E0: D0CB0028 00024F1F
	v_add_u32_e32 v31, 64, v31                                 // 0000000087E8: 683E3EC0
	s_nop 0                                                    // 0000000087EC: BF800000
	v_cndmask_b32_e64 v120, v55, v120, s[40:41]                // 0000000087F0: D1000078 00A2F137
	v_cmp_le_u32_e64 s[40:41], v32, v39                        // 0000000087F8: D0CB0028 00024F20
	v_add_u32_e32 v32, 64, v32                                 // 000000008800: 684040C0
	s_nop 0                                                    // 000000008804: BF800000
	v_cndmask_b32_e64 v121, v55, v121, s[40:41]                // 000000008808: D1000079 00A2F337
	v_cmp_le_u32_e64 s[40:41], v33, v39                        // 000000008810: D0CB0028 00024F21
	v_add_u32_e32 v33, 64, v33                                 // 000000008818: 684242C0
	s_nop 0                                                    // 00000000881C: BF800000
	v_cndmask_b32_e64 v122, v55, v122, s[40:41]                // 000000008820: D100007A 00A2F537
	v_cmp_le_u32_e64 s[40:41], v34, v39                        // 000000008828: D0CB0028 00024F22
	v_add_u32_e32 v34, 64, v34                                 // 000000008830: 684444C0
	s_nop 0                                                    // 000000008834: BF800000
	v_cndmask_b32_e64 v123, v55, v123, s[40:41]                // 000000008838: D100007B 00A2F737
	v_cmp_le_u32_e64 s[40:41], v31, v39                        // 000000008840: D0CB0028 00024F1F
	v_add_u32_e32 v31, 64, v31                                 // 000000008848: 683E3EC0
	s_nop 0                                                    // 00000000884C: BF800000
	v_cndmask_b32_e64 v124, v55, v124, s[40:41]                // 000000008850: D100007C 00A2F937
	v_cmp_le_u32_e64 s[40:41], v32, v39                        // 000000008858: D0CB0028 00024F20
	v_add_u32_e32 v32, 64, v32                                 // 000000008860: 684040C0
	s_nop 0                                                    // 000000008864: BF800000
	v_cndmask_b32_e64 v125, v55, v125, s[40:41]                // 000000008868: D100007D 00A2FB37
	v_cmp_le_u32_e64 s[40:41], v33, v39                        // 000000008870: D0CB0028 00024F21
	v_add_u32_e32 v33, 64, v33                                 // 000000008878: 684242C0
	s_nop 0                                                    // 00000000887C: BF800000
	v_cndmask_b32_e64 v126, v55, v126, s[40:41]                // 000000008880: D100007E 00A2FD37
	v_cmp_le_u32_e64 s[40:41], v34, v39                        // 000000008888: D0CB0028 00024F22
	v_add_u32_e32 v34, 64, v34                                 // 000000008890: 684444C0
	s_nop 0                                                    // 000000008894: BF800000
	v_cndmask_b32_e64 v127, v55, v127, s[40:41]                // 000000008898: D100007F 00A2FF37

00000000000088a0 <label_19A9>:
	s_add_u32 s90, s91, s90                                    // 0000000088A0: 805A5A5B
	s_nop 0                                                    // 0000000088A4: BF800000
	buffer_load_dwordx4 a[32:35], v25, s[16:19], 0 offen       // 0000000088A8: E05C1000 80842019
	s_nop 8                                                    // 0000000088B0: BF800008
	buffer_load_dwordx4 a[36:39], v25, s[16:19], 0 offen offset:1024// 0000000088B4: E05C1400 80842419
	v_mov_b32_e32 v50, v112                                    // 0000000088BC: 7E640370
	v_max3_f32 v50, v112, v113, v50                            // 0000000088C0: D1D30032 04CAE370
	v_max3_f32 v50, v114, v115, v50                            // 0000000088C8: D1D30032 04CAE772
	v_max3_f32 v50, v116, v117, v50                            // 0000000088D0: D1D30032 04CAEB74
	v_max3_f32 v50, v118, v119, v50                            // 0000000088D8: D1D30032 04CAEF76
	v_max3_f32 v50, v120, v121, v50                            // 0000000088E0: D1D30032 04CAF378
	v_max3_f32 v50, v122, v123, v50                            // 0000000088E8: D1D30032 04CAF77A
	v_max3_f32 v50, v124, v125, v50                            // 0000000088F0: D1D30032 04CAFB7C
	v_max3_f32 v50, v126, v127, v50                            // 0000000088F8: D1D30032 04CAFF7E
	ds_write_b32 v11, v50                                      // 000000008900: D81A0000 0000320B
	buffer_load_dwordx4 a[40:43], v25, s[16:19], 0 offen offset:2048// 000000008908: E05C1800 80842819
	s_waitcnt lgkmcnt(0)                                       // 000000008910: BF8CC07F
	s_barrier                                                  // 000000008914: BF8A0000
	ds_read_b32 v64, v10                                       // 000000008918: D86C0000 4000000A
	buffer_load_dwordx4 a[44:47], v25, s[16:19], 0 offen offset:3072// 000000008920: E05C1C00 80842C19
	ds_read_b32 v65, v10 offset:64                             // 000000008928: D86C0040 4100000A
	ds_read_b32 v66, v10 offset:128                            // 000000008930: D86C0080 4200000A
	ds_read_b32 v67, v10 offset:192                            // 000000008938: D86C00C0 4300000A
	ds_read_b32 v68, v10 offset:256                            // 000000008940: D86C0100 4400000A
	ds_read_b32 v69, v10 offset:320                            // 000000008948: D86C0140 4500000A
	ds_read_b32 v70, v10 offset:384                            // 000000008950: D86C0180 4600000A
	ds_read_b32 v71, v10 offset:448                            // 000000008958: D86C01C0 4700000A
	ds_read_b32 v72, v10 offset:512                            // 000000008960: D86C0200 4800000A
	buffer_load_dwordx4 a[48:51], v26, s[16:19], 0 offen       // 000000008968: E05C1000 8084301A
	ds_read_b32 v73, v10 offset:576                            // 000000008970: D86C0240 4900000A
	ds_read_b32 v74, v10 offset:640                            // 000000008978: D86C0280 4A00000A
	ds_read_b32 v75, v10 offset:704                            // 000000008980: D86C02C0 4B00000A
	ds_read_b32 v76, v10 offset:768                            // 000000008988: D86C0300 4C00000A
	ds_read_b32 v77, v10 offset:832                            // 000000008990: D86C0340 4D00000A
	ds_read_b32 v78, v10 offset:896                            // 000000008998: D86C0380 4E00000A
	ds_read_b32 v79, v10 offset:960                            // 0000000089A0: D86C03C0 4F00000A
	buffer_load_dwordx4 a[52:55], v26, s[16:19], 0 offen offset:1024// 0000000089A8: E05C1400 8084341A
	buffer_load_dwordx4 a[56:59], v26, s[16:19], 0 offen offset:2048// 0000000089B0: E05C1800 8084381A
	s_waitcnt lgkmcnt(0)                                       // 0000000089B8: BF8CC07F
	v_max3_f32 v50, v64, v65, v50                              // 0000000089BC: D1D30032 04CA8340
	v_max3_f32 v50, v66, v67, v50                              // 0000000089C4: D1D30032 04CA8742
	v_max3_f32 v50, v68, v69, v50                              // 0000000089CC: D1D30032 04CA8B44
	v_max3_f32 v50, v70, v71, v50                              // 0000000089D4: D1D30032 04CA8F46
	v_max3_f32 v50, v72, v73, v50                              // 0000000089DC: D1D30032 04CA9348
	v_max3_f32 v50, v74, v75, v50                              // 0000000089E4: D1D30032 04CA974A
	v_max3_f32 v50, v76, v77, v50                              // 0000000089EC: D1D30032 04CA9B4C
	v_max3_f32 v50, v78, v79, v50                              // 0000000089F4: D1D30032 04CA9F4E
	buffer_load_dwordx4 a[60:63], v26, s[16:19], 0 offen offset:3072// 0000000089FC: E05C1C00 80843C1A
	v_cmp_eq_u32_e64 s[40:41], v55, v14                        // 000000008A04: D0CA0028 00021D37
	s_nop 1                                                    // 000000008A0C: BF800001
	v_max_f32_e32 v16, v50, v14                                // 000000008A10: 16201D32
	v_sub_f32_e32 v51, v14, v16                                // 000000008A14: 0466210E
	v_cndmask_b32_e64 v51, v51, 0, s[40:41]                    // 000000008A18: D1000033 00A10133
	v_mov_b32_e32 v14, v16                                     // 000000008A20: 7E1C0310
	v_mul_f32_e32 v53, s64, v16                                // 000000008A24: 0A6A2040
	v_mul_f32_e32 v51, s64, v51                                // 000000008A28: 0A666640
	v_exp_f32_e32 v51, v51                                     // 000000008A2C: 7E664133
	buffer_load_dwordx4 a[128:131], v192, s[20:23], 0 offen    // 000000008A30: E05C1000 808580C0
	v_fma_f32 v112, v112, s64, -v53                            // 000000008A38: D1CB0070 84D48170
	v_fma_f32 v113, v113, s64, -v53                            // 000000008A40: D1CB0071 84D48171
	v_fma_f32 v114, v114, s64, -v53                            // 000000008A48: D1CB0072 84D48172
	v_fma_f32 v115, v115, s64, -v53                            // 000000008A50: D1CB0073 84D48173
	v_fma_f32 v116, v116, s64, -v53                            // 000000008A58: D1CB0074 84D48174
	v_fma_f32 v117, v117, s64, -v53                            // 000000008A60: D1CB0075 84D48175
	v_fma_f32 v118, v118, s64, -v53                            // 000000008A68: D1CB0076 84D48176
	v_fma_f32 v119, v119, s64, -v53                            // 000000008A70: D1CB0077 84D48177
	v_fma_f32 v120, v120, s64, -v53                            // 000000008A78: D1CB0078 84D48178
	v_fma_f32 v121, v121, s64, -v53                            // 000000008A80: D1CB0079 84D48179
	v_fma_f32 v122, v122, s64, -v53                            // 000000008A88: D1CB007A 84D4817A
	v_fma_f32 v123, v123, s64, -v53                            // 000000008A90: D1CB007B 84D4817B
	v_fma_f32 v124, v124, s64, -v53                            // 000000008A98: D1CB007C 84D4817C
	v_fma_f32 v125, v125, s64, -v53                            // 000000008AA0: D1CB007D 84D4817D
	v_fma_f32 v126, v126, s64, -v53                            // 000000008AA8: D1CB007E 84D4817E
	v_fma_f32 v127, v127, s64, -v53                            // 000000008AB0: D1CB007F 84D4817F
	v_exp_f32_e32 v112, v112                                   // 000000008AB8: 7EE04170
	v_exp_f32_e32 v113, v113                                   // 000000008ABC: 7EE24171
	v_exp_f32_e32 v114, v114                                   // 000000008AC0: 7EE44172
	v_exp_f32_e32 v115, v115                                   // 000000008AC4: 7EE64173
	v_exp_f32_e32 v116, v116                                   // 000000008AC8: 7EE84174
	v_exp_f32_e32 v117, v117                                   // 000000008ACC: 7EEA4175
	v_exp_f32_e32 v118, v118                                   // 000000008AD0: 7EEC4176
	v_exp_f32_e32 v119, v119                                   // 000000008AD4: 7EEE4177
	v_exp_f32_e32 v120, v120                                   // 000000008AD8: 7EF04178
	v_exp_f32_e32 v121, v121                                   // 000000008ADC: 7EF24179
	v_exp_f32_e32 v122, v122                                   // 000000008AE0: 7EF4417A
	v_exp_f32_e32 v123, v123                                   // 000000008AE4: 7EF6417B
	v_exp_f32_e32 v124, v124                                   // 000000008AE8: 7EF8417C
	v_exp_f32_e32 v125, v125                                   // 000000008AEC: 7EFA417D
	v_exp_f32_e32 v126, v126                                   // 000000008AF0: 7EFC417E
	v_exp_f32_e32 v127, v127                                   // 000000008AF4: 7EFE417F
	buffer_load_dwordx4 a[132:135], v193, s[20:23], 0 offen    // 000000008AF8: E05C1000 808584C1
	v_mul_f32_e32 v43, v51, v43                                // 000000008B00: 0A565733
	v_mov_b32_e32 v45, v112                                    // 000000008B04: 7E5A0370
	v_add_f32_e32 v45, v113, v45                               // 000000008B08: 025A5B71
	v_add_f32_e32 v45, v114, v45                               // 000000008B0C: 025A5B72
	v_add_f32_e32 v45, v115, v45                               // 000000008B10: 025A5B73
	v_add_f32_e32 v45, v116, v45                               // 000000008B14: 025A5B74
	v_add_f32_e32 v45, v117, v45                               // 000000008B18: 025A5B75
	v_add_f32_e32 v45, v118, v45                               // 000000008B1C: 025A5B76
	v_add_f32_e32 v45, v119, v45                               // 000000008B20: 025A5B77
	v_add_f32_e32 v45, v120, v45                               // 000000008B24: 025A5B78
	v_add_f32_e32 v45, v121, v45                               // 000000008B28: 025A5B79
	v_add_f32_e32 v45, v122, v45                               // 000000008B2C: 025A5B7A
	v_add_f32_e32 v45, v123, v45                               // 000000008B30: 025A5B7B
	v_add_f32_e32 v45, v124, v45                               // 000000008B34: 025A5B7C
	v_add_f32_e32 v45, v125, v45                               // 000000008B38: 025A5B7D
	v_add_f32_e32 v45, v126, v45                               // 000000008B3C: 025A5B7E
	v_add_f32_e32 v45, v127, v45                               // 000000008B40: 025A5B7F
	v_add_f32_e32 v43, v45, v43                                // 000000008B44: 0256572D
	buffer_load_dwordx4 a[136:139], v194, s[20:23], 0 offen    // 000000008B48: E05C1000 808588C2
	v_cmp_u_f32_e64 s[40:41], v112, v112                       // 000000008B50: D0480028 0002E170
	v_add3_u32 v19, v112, v22, 1                               // 000000008B58: D1FF0013 02062D70
	v_cndmask_b32_e64 v39, v19, v21, s[40:41]                  // 000000008B60: D1000027 00A22B13
	v_cmp_u_f32_e64 s[40:41], v113, v113                       // 000000008B68: D0480028 0002E371
	v_add3_u32 v19, v113, v22, 1                               // 000000008B70: D1FF0013 02062D71
	v_cndmask_b32_e64 v40, v19, v21, s[40:41]                  // 000000008B78: D1000028 00A22B13
	v_perm_b32 v112, v40, v39, s52                             // 000000008B80: D1ED0070 00D24F28
	v_cmp_u_f32_e64 s[40:41], v114, v114                       // 000000008B88: D0480028 0002E572
	v_add3_u32 v19, v114, v22, 1                               // 000000008B90: D1FF0013 02062D72
	v_cndmask_b32_e64 v39, v19, v21, s[40:41]                  // 000000008B98: D1000027 00A22B13
	v_cmp_u_f32_e64 s[40:41], v115, v115                       // 000000008BA0: D0480028 0002E773
	v_add3_u32 v19, v115, v22, 1                               // 000000008BA8: D1FF0013 02062D73
	v_cndmask_b32_e64 v40, v19, v21, s[40:41]                  // 000000008BB0: D1000028 00A22B13
	v_perm_b32 v113, v40, v39, s52                             // 000000008BB8: D1ED0071 00D24F28
	v_cmp_u_f32_e64 s[40:41], v116, v116                       // 000000008BC0: D0480028 0002E974
	v_add3_u32 v19, v116, v22, 1                               // 000000008BC8: D1FF0013 02062D74
	v_cndmask_b32_e64 v39, v19, v21, s[40:41]                  // 000000008BD0: D1000027 00A22B13
	v_cmp_u_f32_e64 s[40:41], v117, v117                       // 000000008BD8: D0480028 0002EB75
	v_add3_u32 v19, v117, v22, 1                               // 000000008BE0: D1FF0013 02062D75
	v_cndmask_b32_e64 v40, v19, v21, s[40:41]                  // 000000008BE8: D1000028 00A22B13
	v_perm_b32 v114, v40, v39, s52                             // 000000008BF0: D1ED0072 00D24F28
	v_cmp_u_f32_e64 s[40:41], v118, v118                       // 000000008BF8: D0480028 0002ED76
	v_add3_u32 v19, v118, v22, 1                               // 000000008C00: D1FF0013 02062D76
	v_cndmask_b32_e64 v39, v19, v21, s[40:41]                  // 000000008C08: D1000027 00A22B13
	v_cmp_u_f32_e64 s[40:41], v119, v119                       // 000000008C10: D0480028 0002EF77
	v_add3_u32 v19, v119, v22, 1                               // 000000008C18: D1FF0013 02062D77
	v_cndmask_b32_e64 v40, v19, v21, s[40:41]                  // 000000008C20: D1000028 00A22B13
	v_perm_b32 v115, v40, v39, s52                             // 000000008C28: D1ED0073 00D24F28
	v_cmp_u_f32_e64 s[40:41], v120, v120                       // 000000008C30: D0480028 0002F178
	v_add3_u32 v19, v120, v22, 1                               // 000000008C38: D1FF0013 02062D78
	v_cndmask_b32_e64 v39, v19, v21, s[40:41]                  // 000000008C40: D1000027 00A22B13
	v_cmp_u_f32_e64 s[40:41], v121, v121                       // 000000008C48: D0480028 0002F379
	v_add3_u32 v19, v121, v22, 1                               // 000000008C50: D1FF0013 02062D79
	v_cndmask_b32_e64 v40, v19, v21, s[40:41]                  // 000000008C58: D1000028 00A22B13
	v_perm_b32 v116, v40, v39, s52                             // 000000008C60: D1ED0074 00D24F28
	v_cmp_u_f32_e64 s[40:41], v122, v122                       // 000000008C68: D0480028 0002F57A
	v_add3_u32 v19, v122, v22, 1                               // 000000008C70: D1FF0013 02062D7A
	v_cndmask_b32_e64 v39, v19, v21, s[40:41]                  // 000000008C78: D1000027 00A22B13
	v_cmp_u_f32_e64 s[40:41], v123, v123                       // 000000008C80: D0480028 0002F77B
	v_add3_u32 v19, v123, v22, 1                               // 000000008C88: D1FF0013 02062D7B
	v_cndmask_b32_e64 v40, v19, v21, s[40:41]                  // 000000008C90: D1000028 00A22B13
	v_perm_b32 v117, v40, v39, s52                             // 000000008C98: D1ED0075 00D24F28
	v_cmp_u_f32_e64 s[40:41], v124, v124                       // 000000008CA0: D0480028 0002F97C
	v_add3_u32 v19, v124, v22, 1                               // 000000008CA8: D1FF0013 02062D7C
	v_cndmask_b32_e64 v39, v19, v21, s[40:41]                  // 000000008CB0: D1000027 00A22B13
	v_cmp_u_f32_e64 s[40:41], v125, v125                       // 000000008CB8: D0480028 0002FB7D
	v_add3_u32 v19, v125, v22, 1                               // 000000008CC0: D1FF0013 02062D7D
	v_cndmask_b32_e64 v40, v19, v21, s[40:41]                  // 000000008CC8: D1000028 00A22B13
	v_perm_b32 v118, v40, v39, s52                             // 000000008CD0: D1ED0076 00D24F28
	v_cmp_u_f32_e64 s[40:41], v126, v126                       // 000000008CD8: D0480028 0002FD7E
	v_add3_u32 v19, v126, v22, 1                               // 000000008CE0: D1FF0013 02062D7E
	v_cndmask_b32_e64 v39, v19, v21, s[40:41]                  // 000000008CE8: D1000027 00A22B13
	v_cmp_u_f32_e64 s[40:41], v127, v127                       // 000000008CF0: D0480028 0002FF7F
	v_add3_u32 v19, v127, v22, 1                               // 000000008CF8: D1FF0013 02062D7F
	v_cndmask_b32_e64 v40, v19, v21, s[40:41]                  // 000000008D00: D1000028 00A22B13
	v_perm_b32 v119, v40, v39, s52                             // 000000008D08: D1ED0077 00D24F28
	buffer_load_dwordx4 a[140:143], v195, s[20:23], 0 offen    // 000000008D10: E05C1000 80858CC3
	buffer_load_dwordx4 a[144:147], v196, s[20:23], 0 offen    // 000000008D18: E05C1000 808590C4
	ds_write_b64 v13, v[112:113] offset:4096                   // 000000008D20: D89A1000 0000700D
	ds_write_b64 v13, v[114:115] offset:6144                   // 000000008D28: D89A1800 0000720D
	ds_write_b64 v13, v[116:117] offset:8192                   // 000000008D30: D89A2000 0000740D
	ds_write_b64 v13, v[118:119] offset:10240                  // 000000008D38: D89A2800 0000760D
	buffer_load_dwordx4 a[148:151], v197, s[20:23], 0 offen    // 000000008D40: E05C1000 808594C5
	s_waitcnt lgkmcnt(0)                                       // 000000008D48: BF8CC07F
	s_barrier                                                  // 000000008D4C: BF8A0000
	ds_read_b64 v[112:113], v12 offset:4096                    // 000000008D50: D8EC1000 7000000C
	ds_read_b64 v[114:115], v12 offset:4224                    // 000000008D58: D8EC1080 7200000C
	ds_read_b64 v[116:117], v12 offset:5120                    // 000000008D60: D8EC1400 7400000C
	ds_read_b64 v[118:119], v12 offset:5248                    // 000000008D68: D8EC1480 7600000C
	ds_read_b64 v[120:121], v12 offset:6144                    // 000000008D70: D8EC1800 7800000C
	ds_read_b64 v[122:123], v12 offset:6272                    // 000000008D78: D8EC1880 7A00000C
	ds_read_b64 v[124:125], v12 offset:7168                    // 000000008D80: D8EC1C00 7C00000C
	ds_read_b64 v[126:127], v12 offset:7296                    // 000000008D88: D8EC1C80 7E00000C
	ds_read_b64 v[128:129], v12 offset:8192                    // 000000008D90: D8EC2000 8000000C
	ds_read_b64 v[130:131], v12 offset:8320                    // 000000008D98: D8EC2080 8200000C
	ds_read_b64 v[132:133], v12 offset:9216                    // 000000008DA0: D8EC2400 8400000C
	ds_read_b64 v[134:135], v12 offset:9344                    // 000000008DA8: D8EC2480 8600000C
	ds_read_b64 v[136:137], v12 offset:10240                   // 000000008DB0: D8EC2800 8800000C
	ds_read_b64 v[138:139], v12 offset:10368                   // 000000008DB8: D8EC2880 8A00000C
	ds_read_b64 v[140:141], v12 offset:11264                   // 000000008DC0: D8EC2C00 8C00000C
	ds_read_b64 v[142:143], v12 offset:11392                   // 000000008DC8: D8EC2C80 8E00000C
	buffer_load_dwordx4 a[152:155], v198, s[20:23], 0 offen    // 000000008DD0: E05C1000 808598C6
	buffer_load_dwordx4 a[156:159], v199, s[20:23], 0 offen    // 000000008DD8: E05C1000 80859CC7
	s_waitcnt lgkmcnt(0)                                       // 000000008DE0: BF8CC07F
	v_mul_f32_e32 v176, v51, v176                              // 000000008DE4: 0B616133
	v_mul_f32_e32 v177, v51, v177                              // 000000008DE8: 0B636333
	v_mul_f32_e32 v178, v51, v178                              // 000000008DEC: 0B656533
	v_mul_f32_e32 v179, v51, v179                              // 000000008DF0: 0B676733
	v_mul_f32_e32 v180, v51, v180                              // 000000008DF4: 0B696933
	v_mul_f32_e32 v181, v51, v181                              // 000000008DF8: 0B6B6B33
	v_mul_f32_e32 v182, v51, v182                              // 000000008DFC: 0B6D6D33
	v_mul_f32_e32 v183, v51, v183                              // 000000008E00: 0B6F6F33
	s_waitcnt vmcnt(24)                                        // 000000008E04: BF8C4F78
	v_mfma_f32_16x16x16_bf16 v[176:179], a[192:193], v[112:113], v[176:179]// 000000008E08: D3E100B0 0EC2E1C0
	buffer_load_dwordx4 a[160:163], v192, s[20:23], 0 offen offset:1024// 000000008E10: E05C1400 8085A0C0
	v_mfma_f32_16x16x16_bf16 v[176:179], a[194:195], v[114:115], v[176:179]// 000000008E18: D3E100B0 0EC2E5C2
	v_mfma_f32_16x16x16_bf16 v[176:179], a[196:197], v[116:117], v[176:179]// 000000008E20: D3E100B0 0EC2E9C4
	v_mfma_f32_16x16x16_bf16 v[176:179], a[198:199], v[118:119], v[176:179]// 000000008E28: D3E100B0 0EC2EDC6
	v_mfma_f32_16x16x16_bf16 v[176:179], a[200:201], v[120:121], v[176:179]// 000000008E30: D3E100B0 0EC2F1C8
	buffer_load_dwordx4 a[164:167], v193, s[20:23], 0 offen offset:1024// 000000008E38: E05C1400 8085A4C1
	v_mfma_f32_16x16x16_bf16 v[176:179], a[202:203], v[122:123], v[176:179]// 000000008E40: D3E100B0 0EC2F5CA
	v_mfma_f32_16x16x16_bf16 v[176:179], a[204:205], v[124:125], v[176:179]// 000000008E48: D3E100B0 0EC2F9CC
	v_mfma_f32_16x16x16_bf16 v[176:179], a[206:207], v[126:127], v[176:179]// 000000008E50: D3E100B0 0EC2FDCE
	v_mfma_f32_16x16x16_bf16 v[176:179], a[208:209], v[128:129], v[176:179]// 000000008E58: D3E100B0 0EC301D0
	buffer_load_dwordx4 a[168:171], v194, s[20:23], 0 offen offset:1024// 000000008E60: E05C1400 8085A8C2
	v_mfma_f32_16x16x16_bf16 v[176:179], a[210:211], v[130:131], v[176:179]// 000000008E68: D3E100B0 0EC305D2
	v_mfma_f32_16x16x16_bf16 v[176:179], a[212:213], v[132:133], v[176:179]// 000000008E70: D3E100B0 0EC309D4
	v_mfma_f32_16x16x16_bf16 v[176:179], a[214:215], v[134:135], v[176:179]// 000000008E78: D3E100B0 0EC30DD6
	v_mfma_f32_16x16x16_bf16 v[176:179], a[216:217], v[136:137], v[176:179]// 000000008E80: D3E100B0 0EC311D8
	buffer_load_dwordx4 a[172:175], v195, s[20:23], 0 offen offset:1024// 000000008E88: E05C1400 8085ACC3
	v_mfma_f32_16x16x16_bf16 v[176:179], a[218:219], v[138:139], v[176:179]// 000000008E90: D3E100B0 0EC315DA
	v_mfma_f32_16x16x16_bf16 v[176:179], a[220:221], v[140:141], v[176:179]// 000000008E98: D3E100B0 0EC319DC
	v_mfma_f32_16x16x16_bf16 v[176:179], a[222:223], v[142:143], v[176:179]// 000000008EA0: D3E100B0 0EC31DDE
	v_mfma_f32_16x16x16_bf16 v[180:183], a[224:225], v[112:113], v[180:183]// 000000008EA8: D3E100B4 0ED2E1E0
	buffer_load_dwordx4 a[176:179], v196, s[20:23], 0 offen offset:1024// 000000008EB0: E05C1400 8085B0C4
	v_mfma_f32_16x16x16_bf16 v[180:183], a[226:227], v[114:115], v[180:183]// 000000008EB8: D3E100B4 0ED2E5E2
	v_mfma_f32_16x16x16_bf16 v[180:183], a[228:229], v[116:117], v[180:183]// 000000008EC0: D3E100B4 0ED2E9E4
	v_mfma_f32_16x16x16_bf16 v[180:183], a[230:231], v[118:119], v[180:183]// 000000008EC8: D3E100B4 0ED2EDE6
	v_mfma_f32_16x16x16_bf16 v[180:183], a[232:233], v[120:121], v[180:183]// 000000008ED0: D3E100B4 0ED2F1E8
	buffer_load_dwordx4 a[180:183], v197, s[20:23], 0 offen offset:1024// 000000008ED8: E05C1400 8085B4C5
	v_mfma_f32_16x16x16_bf16 v[180:183], a[234:235], v[122:123], v[180:183]// 000000008EE0: D3E100B4 0ED2F5EA
	v_mfma_f32_16x16x16_bf16 v[180:183], a[236:237], v[124:125], v[180:183]// 000000008EE8: D3E100B4 0ED2F9EC
	v_mfma_f32_16x16x16_bf16 v[180:183], a[238:239], v[126:127], v[180:183]// 000000008EF0: D3E100B4 0ED2FDEE
	v_mfma_f32_16x16x16_bf16 v[180:183], a[240:241], v[128:129], v[180:183]// 000000008EF8: D3E100B4 0ED301F0
	buffer_load_dwordx4 a[184:187], v198, s[20:23], 0 offen offset:1024// 000000008F00: E05C1400 8085B8C6
	v_mfma_f32_16x16x16_bf16 v[180:183], a[242:243], v[130:131], v[180:183]// 000000008F08: D3E100B4 0ED305F2
	v_mfma_f32_16x16x16_bf16 v[180:183], a[244:245], v[132:133], v[180:183]// 000000008F10: D3E100B4 0ED309F4
	v_mfma_f32_16x16x16_bf16 v[180:183], a[246:247], v[134:135], v[180:183]// 000000008F18: D3E100B4 0ED30DF6
	v_mfma_f32_16x16x16_bf16 v[180:183], a[248:249], v[136:137], v[180:183]// 000000008F20: D3E100B4 0ED311F8
	buffer_load_dwordx4 a[188:191], v199, s[20:23], 0 offen offset:1024// 000000008F28: E05C1400 8085BCC7
	v_mfma_f32_16x16x16_bf16 v[180:183], a[250:251], v[138:139], v[180:183]// 000000008F30: D3E100B4 0ED315FA
	v_mfma_f32_16x16x16_bf16 v[180:183], a[252:253], v[140:141], v[180:183]// 000000008F38: D3E100B4 0ED319FC
	v_mfma_f32_16x16x16_bf16 v[180:183], a[254:255], v[142:143], v[180:183]// 000000008F40: D3E100B4 0ED31DFE
	s_lshr_b32 s60, s70, 4                                     // 000000008F48: 8F3C8446
	s_add_u32 s60, 48, s60                                     // 000000008F4C: 803C3CB0
	s_cmp_ge_u32 s60, s73                                      // 000000008F50: BF09493C
	s_cselect_b32 s56, 0, s56                                  // 000000008F54: 85383880
	v_mul_u32_u24_dpp v39, v18, v54 row_newbcast:0 row_mask:0xf bank_mask:0xf// 000000008F58: 104E6CFA FF015012
	v_mul_u32_u24_dpp v40, v18, v54 row_newbcast:4 row_mask:0xf bank_mask:0xf// 000000008F60: 10506CFA FF015412
	v_mul_u32_u24_dpp v41, v18, v54 row_newbcast:8 row_mask:0xf bank_mask:0xf// 000000008F68: 10526CFA FF015812
	v_mul_u32_u24_dpp v42, v18, v54 row_newbcast:12 row_mask:0xf bank_mask:0xf// 000000008F70: 10546CFA FF015C12
	v_add_u32_e32 v27, v39, v6                                 // 000000008F78: 68360D27
	v_add_u32_e32 v28, v40, v6                                 // 000000008F7C: 68380D28
	v_add_u32_e32 v29, v41, v6                                 // 000000008F80: 683A0D29
	v_add_u32_e32 v30, v42, v6                                 // 000000008F84: 683C0D2A
	v_mul_u32_u24_dpp v39, v18, v54 row_newbcast:1 row_mask:0xf bank_mask:0xf// 000000008F88: 104E6CFA FF015112
	v_mul_u32_u24_dpp v40, v18, v54 row_newbcast:2 row_mask:0xf bank_mask:0xf// 000000008F90: 10506CFA FF015212
	v_mul_u32_u24_dpp v41, v18, v54 row_newbcast:5 row_mask:0xf bank_mask:0xf// 000000008F98: 10526CFA FF015512
	v_mul_u32_u24_dpp v42, v18, v54 row_newbcast:6 row_mask:0xf bank_mask:0xf// 000000008FA0: 10546CFA FF015612
	v_add_u32_e32 v200, v39, v7                                // 000000008FA8: 69900F27
	v_add_u32_e32 v201, v40, v7                                // 000000008FAC: 69920F28
	v_add_u32_e32 v202, v41, v7                                // 000000008FB0: 69940F29
	v_add_u32_e32 v203, v42, v7                                // 000000008FB4: 69960F2A
	v_mul_u32_u24_dpp v39, v18, v54 row_newbcast:9 row_mask:0xf bank_mask:0xf// 000000008FB8: 104E6CFA FF015912
	v_mul_u32_u24_dpp v40, v18, v54 row_newbcast:10 row_mask:0xf bank_mask:0xf// 000000008FC0: 10506CFA FF015A12
	v_mul_u32_u24_dpp v41, v18, v54 row_newbcast:13 row_mask:0xf bank_mask:0xf// 000000008FC8: 10526CFA FF015D12
	v_mul_u32_u24_dpp v42, v18, v54 row_newbcast:7 row_mask:0xf bank_mask:0xf// 000000008FD0: 10546CFA FF015712
	v_add_u32_e32 v204, v39, v7                                // 000000008FD8: 69980F27
	v_add_u32_e32 v205, v40, v7                                // 000000008FDC: 699A0F28
	v_add_u32_e32 v206, v41, v7                                // 000000008FE0: 699C0F29
	v_add_u32_e32 v207, v42, v7                                // 000000008FE4: 699E0F2A
	v_add_u32_e32 v1, s56, v1                                  // 000000008FE8: 68020238
	s_addk_i32 s70, 0x100                                      // 000000008FEC: B7460100
	s_cmp_lt_i32 s70, s71                                      // 000000008FF0: BF044746
	s_cbranch_scc0 label_1640                                  // 000000008FF4: BF84FAC1
	s_branch label_1643                                        // 000000008FF8: BF82FAC3

0000000000008ffc <label_1B80>:
	s_lshr_b32 s60, s71, 4                                     // 000000008FFC: 8F3C8447
	s_cmp_eq_i32 s60, s73                                      // 000000009000: BF00493C
	s_cbranch_scc1 label_20C3                                  // 000000009004: BF850540

0000000000009008 <label_1B83>:
	s_lshr_b32 s60, s71, 8                                     // 000000009008: 8F3C8847
	s_and_b32 s60, s60, 1                                      // 00000000900C: 863C813C
	s_cmp_eq_i32 s60, 1                                        // 000000009010: BF00813C
	s_cbranch_scc1 label_1E25                                  // 000000009014: BF85029E
	s_waitcnt vmcnt(16) lgkmcnt(0)                             // 000000009018: BF8C4070
	s_barrier                                                  // 00000000901C: BF8A0000
	v_mfma_f32_16x16x16_bf16 v[112:115], a[0:1], v[80:81], 0   // 000000009020: D3E10070 0A02A100
	v_mfma_f32_16x16x16_bf16 v[112:115], a[2:3], v[82:83], v[112:115]// 000000009028: D3E10070 0DC2A502
	v_mfma_f32_16x16x16_bf16 v[112:115], a[4:5], v[84:85], v[112:115]// 000000009030: D3E10070 0DC2A904
	v_mfma_f32_16x16x16_bf16 v[112:115], a[6:7], v[86:87], v[112:115]// 000000009038: D3E10070 0DC2AD06
	v_mfma_f32_16x16x16_bf16 v[112:115], a[8:9], v[88:89], v[112:115]// 000000009040: D3E10070 0DC2B108
	v_mfma_f32_16x16x16_bf16 v[112:115], a[10:11], v[90:91], v[112:115]// 000000009048: D3E10070 0DC2B50A
	v_mfma_f32_16x16x16_bf16 v[112:115], a[12:13], v[92:93], v[112:115]// 000000009050: D3E10070 0DC2B90C
	v_mfma_f32_16x16x16_bf16 v[112:115], a[14:15], v[94:95], v[112:115]// 000000009058: D3E10070 0DC2BD0E
	v_mfma_f32_16x16x16_bf16 v[116:119], a[16:17], v[80:81], 0 // 000000009060: D3E10074 0A02A110
	v_mfma_f32_16x16x16_bf16 v[116:119], a[18:19], v[82:83], v[116:119]// 000000009068: D3E10074 0DD2A512
	v_mfma_f32_16x16x16_bf16 v[116:119], a[20:21], v[84:85], v[116:119]// 000000009070: D3E10074 0DD2A914
	v_mfma_f32_16x16x16_bf16 v[116:119], a[22:23], v[86:87], v[116:119]// 000000009078: D3E10074 0DD2AD16
	v_mfma_f32_16x16x16_bf16 v[116:119], a[24:25], v[88:89], v[116:119]// 000000009080: D3E10074 0DD2B118
	v_mfma_f32_16x16x16_bf16 v[116:119], a[26:27], v[90:91], v[116:119]// 000000009088: D3E10074 0DD2B51A
	v_mfma_f32_16x16x16_bf16 v[116:119], a[28:29], v[92:93], v[116:119]// 000000009090: D3E10074 0DD2B91C
	v_mfma_f32_16x16x16_bf16 v[116:119], a[30:31], v[94:95], v[116:119]// 000000009098: D3E10074 0DD2BD1E
	v_mfma_f32_16x16x16_bf16 v[120:123], a[32:33], v[80:81], 0 // 0000000090A0: D3E10078 0A02A120
	v_mfma_f32_16x16x16_bf16 v[120:123], a[34:35], v[82:83], v[120:123]// 0000000090A8: D3E10078 0DE2A522
	v_mfma_f32_16x16x16_bf16 v[120:123], a[36:37], v[84:85], v[120:123]// 0000000090B0: D3E10078 0DE2A924
	v_mfma_f32_16x16x16_bf16 v[120:123], a[38:39], v[86:87], v[120:123]// 0000000090B8: D3E10078 0DE2AD26
	v_mfma_f32_16x16x16_bf16 v[120:123], a[40:41], v[88:89], v[120:123]// 0000000090C0: D3E10078 0DE2B128
	v_mfma_f32_16x16x16_bf16 v[120:123], a[42:43], v[90:91], v[120:123]// 0000000090C8: D3E10078 0DE2B52A
	v_mfma_f32_16x16x16_bf16 v[120:123], a[44:45], v[92:93], v[120:123]// 0000000090D0: D3E10078 0DE2B92C
	v_mfma_f32_16x16x16_bf16 v[120:123], a[46:47], v[94:95], v[120:123]// 0000000090D8: D3E10078 0DE2BD2E
	v_mfma_f32_16x16x16_bf16 v[124:127], a[48:49], v[80:81], 0 // 0000000090E0: D3E1007C 0A02A130
	v_mfma_f32_16x16x16_bf16 v[124:127], a[50:51], v[82:83], v[124:127]// 0000000090E8: D3E1007C 0DF2A532
	v_mfma_f32_16x16x16_bf16 v[124:127], a[52:53], v[84:85], v[124:127]// 0000000090F0: D3E1007C 0DF2A934
	v_mfma_f32_16x16x16_bf16 v[124:127], a[54:55], v[86:87], v[124:127]// 0000000090F8: D3E1007C 0DF2AD36
	v_mfma_f32_16x16x16_bf16 v[124:127], a[56:57], v[88:89], v[124:127]// 000000009100: D3E1007C 0DF2B138
	v_mfma_f32_16x16x16_bf16 v[124:127], a[58:59], v[90:91], v[124:127]// 000000009108: D3E1007C 0DF2B53A
	v_mfma_f32_16x16x16_bf16 v[124:127], a[60:61], v[92:93], v[124:127]// 000000009110: D3E1007C 0DF2B93C
	v_mfma_f32_16x16x16_bf16 v[124:127], a[62:63], v[94:95], v[124:127]// 000000009118: D3E1007C 0DF2BD3E
	s_cmp_le_i32 s90, s89                                      // 000000009120: BF05595A
	s_cbranch_scc1 label_1C3E                                  // 000000009124: BF850073
	v_mov_b32_e32 v55, 0xff800000                              // 000000009128: 7E6E02FF FF800000
	s_mov_b32 s60, s90                                         // 000000009130: BEBC005A
	s_add_u32 s61, s89, 0xff                                   // 000000009134: 803DFF59 000000FF
	v_mov_b32_e32 v39, s61                                     // 00000000913C: 7E4E023D
	v_lshrrev_b32_e32 v31, 4, v0                               // 000000009140: 203E0084
	v_mul_i32_i24_e32 v31, 4, v31                              // 000000009144: 0C3E3E84
	v_add_u32_e32 v31, s60, v31                                // 000000009148: 683E3E3C
	v_and_b32_e32 v40, 15, v0                                  // 00000000914C: 2650008F
	v_lshrrev_b32_e32 v40, 3, v40                              // 000000009150: 20505083
	s_mov_b32 s61, 0                                           // 000000009154: BEBD0080
	s_mul_i32 s60, 16, s7                                      // 000000009158: 923C0790
	v_add_u32_e32 v40, s61, v40                                // 00000000915C: 6850503D
	v_sub_u32_e32 v31, v31, v40                                // 000000009160: 6A3E511F
	v_add_u32_e32 v31, s60, v31                                // 000000009164: 683E3E3C
	v_add_u32_e32 v32, 1, v31                                  // 000000009168: 68403E81
	v_add_u32_e32 v33, 2, v31                                  // 00000000916C: 68423E82
	v_add_u32_e32 v34, 3, v31                                  // 000000009170: 68443E83
	v_cmp_le_u32_e64 s[40:41], v31, v39                        // 000000009174: D0CB0028 00024F1F
	v_add_u32_e32 v31, 64, v31                                 // 00000000917C: 683E3EC0
	s_nop 0                                                    // 000000009180: BF800000
	v_cndmask_b32_e64 v112, v55, v112, s[40:41]                // 000000009184: D1000070 00A2E137
	v_cmp_le_u32_e64 s[40:41], v32, v39                        // 00000000918C: D0CB0028 00024F20
	v_add_u32_e32 v32, 64, v32                                 // 000000009194: 684040C0
	s_nop 0                                                    // 000000009198: BF800000
	v_cndmask_b32_e64 v113, v55, v113, s[40:41]                // 00000000919C: D1000071 00A2E337
	v_cmp_le_u32_e64 s[40:41], v33, v39                        // 0000000091A4: D0CB0028 00024F21
	v_add_u32_e32 v33, 64, v33                                 // 0000000091AC: 684242C0
	s_nop 0                                                    // 0000000091B0: BF800000
	v_cndmask_b32_e64 v114, v55, v114, s[40:41]                // 0000000091B4: D1000072 00A2E537
	v_cmp_le_u32_e64 s[40:41], v34, v39                        // 0000000091BC: D0CB0028 00024F22
	v_add_u32_e32 v34, 64, v34                                 // 0000000091C4: 684444C0
	s_nop 0                                                    // 0000000091C8: BF800000
	v_cndmask_b32_e64 v115, v55, v115, s[40:41]                // 0000000091CC: D1000073 00A2E737
	v_cmp_le_u32_e64 s[40:41], v31, v39                        // 0000000091D4: D0CB0028 00024F1F
	v_add_u32_e32 v31, 64, v31                                 // 0000000091DC: 683E3EC0
	s_nop 0                                                    // 0000000091E0: BF800000
	v_cndmask_b32_e64 v116, v55, v116, s[40:41]                // 0000000091E4: D1000074 00A2E937
	v_cmp_le_u32_e64 s[40:41], v32, v39                        // 0000000091EC: D0CB0028 00024F20
	v_add_u32_e32 v32, 64, v32                                 // 0000000091F4: 684040C0
	s_nop 0                                                    // 0000000091F8: BF800000
	v_cndmask_b32_e64 v117, v55, v117, s[40:41]                // 0000000091FC: D1000075 00A2EB37
	v_cmp_le_u32_e64 s[40:41], v33, v39                        // 000000009204: D0CB0028 00024F21
	v_add_u32_e32 v33, 64, v33                                 // 00000000920C: 684242C0
	s_nop 0                                                    // 000000009210: BF800000
	v_cndmask_b32_e64 v118, v55, v118, s[40:41]                // 000000009214: D1000076 00A2ED37
	v_cmp_le_u32_e64 s[40:41], v34, v39                        // 00000000921C: D0CB0028 00024F22
	v_add_u32_e32 v34, 64, v34                                 // 000000009224: 684444C0
	s_nop 0                                                    // 000000009228: BF800000
	v_cndmask_b32_e64 v119, v55, v119, s[40:41]                // 00000000922C: D1000077 00A2EF37
	v_cmp_le_u32_e64 s[40:41], v31, v39                        // 000000009234: D0CB0028 00024F1F
	v_add_u32_e32 v31, 64, v31                                 // 00000000923C: 683E3EC0
	s_nop 0                                                    // 000000009240: BF800000
	v_cndmask_b32_e64 v120, v55, v120, s[40:41]                // 000000009244: D1000078 00A2F137
	v_cmp_le_u32_e64 s[40:41], v32, v39                        // 00000000924C: D0CB0028 00024F20
	v_add_u32_e32 v32, 64, v32                                 // 000000009254: 684040C0
	s_nop 0                                                    // 000000009258: BF800000
	v_cndmask_b32_e64 v121, v55, v121, s[40:41]                // 00000000925C: D1000079 00A2F337
	v_cmp_le_u32_e64 s[40:41], v33, v39                        // 000000009264: D0CB0028 00024F21
	v_add_u32_e32 v33, 64, v33                                 // 00000000926C: 684242C0
	s_nop 0                                                    // 000000009270: BF800000
	v_cndmask_b32_e64 v122, v55, v122, s[40:41]                // 000000009274: D100007A 00A2F537
	v_cmp_le_u32_e64 s[40:41], v34, v39                        // 00000000927C: D0CB0028 00024F22
	v_add_u32_e32 v34, 64, v34                                 // 000000009284: 684444C0
	s_nop 0                                                    // 000000009288: BF800000
	v_cndmask_b32_e64 v123, v55, v123, s[40:41]                // 00000000928C: D100007B 00A2F737
	v_cmp_le_u32_e64 s[40:41], v31, v39                        // 000000009294: D0CB0028 00024F1F
	v_add_u32_e32 v31, 64, v31                                 // 00000000929C: 683E3EC0
	s_nop 0                                                    // 0000000092A0: BF800000
	v_cndmask_b32_e64 v124, v55, v124, s[40:41]                // 0000000092A4: D100007C 00A2F937
	v_cmp_le_u32_e64 s[40:41], v32, v39                        // 0000000092AC: D0CB0028 00024F20
	v_add_u32_e32 v32, 64, v32                                 // 0000000092B4: 684040C0
	s_nop 0                                                    // 0000000092B8: BF800000
	v_cndmask_b32_e64 v125, v55, v125, s[40:41]                // 0000000092BC: D100007D 00A2FB37
	v_cmp_le_u32_e64 s[40:41], v33, v39                        // 0000000092C4: D0CB0028 00024F21
	v_add_u32_e32 v33, 64, v33                                 // 0000000092CC: 684242C0
	s_nop 0                                                    // 0000000092D0: BF800000
	v_cndmask_b32_e64 v126, v55, v126, s[40:41]                // 0000000092D4: D100007E 00A2FD37
	v_cmp_le_u32_e64 s[40:41], v34, v39                        // 0000000092DC: D0CB0028 00024F22
	v_add_u32_e32 v34, 64, v34                                 // 0000000092E4: 684444C0
	s_nop 0                                                    // 0000000092E8: BF800000
	v_cndmask_b32_e64 v127, v55, v127, s[40:41]                // 0000000092EC: D100007F 00A2FF37

00000000000092f4 <label_1C3E>:
	s_nop 8                                                    // 0000000092F4: BF800008
	s_and_b32 s60, s72, 0xff                                   // 0000000092F8: 863CFF48 000000FF
	v_mov_b32_e32 v56, s60                                     // 000000009300: 7E70023C
	v_lshrrev_b32_e32 v31, 4, v0                               // 000000009304: 203E0084
	v_mul_i32_i24_e32 v31, 4, v31                              // 000000009308: 0C3E3E84
	s_mul_i32 s60, s7, 16                                      // 00000000930C: 923C9007
	v_add_u32_e32 v31, s60, v31                                // 000000009310: 683E3E3C
	v_add_u32_e32 v32, 1, v31                                  // 000000009314: 68403E81
	v_add_u32_e32 v33, 2, v31                                  // 000000009318: 68423E82
	v_add_u32_e32 v34, 3, v31                                  // 00000000931C: 68443E83
	v_mov_b32_e32 v39, v55                                     // 000000009320: 7E4E0337
	v_cmp_lt_u32_e64 s[40:41], v31, v56                        // 000000009324: D0C90028 0002711F
	v_add_u32_e32 v31, 64, v31                                 // 00000000932C: 683E3EC0
	s_nop 0                                                    // 000000009330: BF800000
	v_cndmask_b32_e64 v112, v39, v112, s[40:41]                // 000000009334: D1000070 00A2E127
	v_cmp_lt_u32_e64 s[40:41], v32, v56                        // 00000000933C: D0C90028 00027120
	v_add_u32_e32 v32, 64, v32                                 // 000000009344: 684040C0
	s_nop 0                                                    // 000000009348: BF800000
	v_cndmask_b32_e64 v113, v39, v113, s[40:41]                // 00000000934C: D1000071 00A2E327
	v_cmp_lt_u32_e64 s[40:41], v33, v56                        // 000000009354: D0C90028 00027121
	v_add_u32_e32 v33, 64, v33                                 // 00000000935C: 684242C0
	s_nop 0                                                    // 000000009360: BF800000
	v_cndmask_b32_e64 v114, v39, v114, s[40:41]                // 000000009364: D1000072 00A2E527
	v_cmp_lt_u32_e64 s[40:41], v34, v56                        // 00000000936C: D0C90028 00027122
	v_add_u32_e32 v34, 64, v34                                 // 000000009374: 684444C0
	s_nop 0                                                    // 000000009378: BF800000
	v_cndmask_b32_e64 v115, v39, v115, s[40:41]                // 00000000937C: D1000073 00A2E727
	v_cmp_lt_u32_e64 s[40:41], v31, v56                        // 000000009384: D0C90028 0002711F
	v_add_u32_e32 v31, 64, v31                                 // 00000000938C: 683E3EC0
	s_nop 0                                                    // 000000009390: BF800000
	v_cndmask_b32_e64 v116, v39, v116, s[40:41]                // 000000009394: D1000074 00A2E927
	v_cmp_lt_u32_e64 s[40:41], v32, v56                        // 00000000939C: D0C90028 00027120
	v_add_u32_e32 v32, 64, v32                                 // 0000000093A4: 684040C0
	s_nop 0                                                    // 0000000093A8: BF800000
	v_cndmask_b32_e64 v117, v39, v117, s[40:41]                // 0000000093AC: D1000075 00A2EB27
	v_cmp_lt_u32_e64 s[40:41], v33, v56                        // 0000000093B4: D0C90028 00027121
	v_add_u32_e32 v33, 64, v33                                 // 0000000093BC: 684242C0
	s_nop 0                                                    // 0000000093C0: BF800000
	v_cndmask_b32_e64 v118, v39, v118, s[40:41]                // 0000000093C4: D1000076 00A2ED27
	v_cmp_lt_u32_e64 s[40:41], v34, v56                        // 0000000093CC: D0C90028 00027122
	v_add_u32_e32 v34, 64, v34                                 // 0000000093D4: 684444C0
	s_nop 0                                                    // 0000000093D8: BF800000
	v_cndmask_b32_e64 v119, v39, v119, s[40:41]                // 0000000093DC: D1000077 00A2EF27
	v_cmp_lt_u32_e64 s[40:41], v31, v56                        // 0000000093E4: D0C90028 0002711F
	v_add_u32_e32 v31, 64, v31                                 // 0000000093EC: 683E3EC0
	s_nop 0                                                    // 0000000093F0: BF800000
	v_cndmask_b32_e64 v120, v39, v120, s[40:41]                // 0000000093F4: D1000078 00A2F127
	v_cmp_lt_u32_e64 s[40:41], v32, v56                        // 0000000093FC: D0C90028 00027120
	v_add_u32_e32 v32, 64, v32                                 // 000000009404: 684040C0
	s_nop 0                                                    // 000000009408: BF800000
	v_cndmask_b32_e64 v121, v39, v121, s[40:41]                // 00000000940C: D1000079 00A2F327
	v_cmp_lt_u32_e64 s[40:41], v33, v56                        // 000000009414: D0C90028 00027121
	v_add_u32_e32 v33, 64, v33                                 // 00000000941C: 684242C0
	s_nop 0                                                    // 000000009420: BF800000
	v_cndmask_b32_e64 v122, v39, v122, s[40:41]                // 000000009424: D100007A 00A2F527
	v_cmp_lt_u32_e64 s[40:41], v34, v56                        // 00000000942C: D0C90028 00027122
	v_add_u32_e32 v34, 64, v34                                 // 000000009434: 684444C0
	s_nop 0                                                    // 000000009438: BF800000
	v_cndmask_b32_e64 v123, v39, v123, s[40:41]                // 00000000943C: D100007B 00A2F727
	v_cmp_lt_u32_e64 s[40:41], v31, v56                        // 000000009444: D0C90028 0002711F
	v_add_u32_e32 v31, 64, v31                                 // 00000000944C: 683E3EC0
	s_nop 0                                                    // 000000009450: BF800000
	v_cndmask_b32_e64 v124, v39, v124, s[40:41]                // 000000009454: D100007C 00A2F927
	v_cmp_lt_u32_e64 s[40:41], v32, v56                        // 00000000945C: D0C90028 00027120
	v_add_u32_e32 v32, 64, v32                                 // 000000009464: 684040C0
	s_nop 0                                                    // 000000009468: BF800000
	v_cndmask_b32_e64 v125, v39, v125, s[40:41]                // 00000000946C: D100007D 00A2FB27
	v_cmp_lt_u32_e64 s[40:41], v33, v56                        // 000000009474: D0C90028 00027121
	v_add_u32_e32 v33, 64, v33                                 // 00000000947C: 684242C0
	s_nop 0                                                    // 000000009480: BF800000
	v_cndmask_b32_e64 v126, v39, v126, s[40:41]                // 000000009484: D100007E 00A2FD27
	v_cmp_lt_u32_e64 s[40:41], v34, v56                        // 00000000948C: D0C90028 00027122
	v_add_u32_e32 v34, 64, v34                                 // 000000009494: 684444C0
	s_nop 0                                                    // 000000009498: BF800000
	v_cndmask_b32_e64 v127, v39, v127, s[40:41]                // 00000000949C: D100007F 00A2FF27
	s_nop 8                                                    // 0000000094A4: BF800008
	v_mov_b32_e32 v50, v112                                    // 0000000094A8: 7E640370
	v_max3_f32 v50, v112, v113, v50                            // 0000000094AC: D1D30032 04CAE370
	v_max3_f32 v50, v114, v115, v50                            // 0000000094B4: D1D30032 04CAE772
	v_max3_f32 v50, v116, v117, v50                            // 0000000094BC: D1D30032 04CAEB74
	v_max3_f32 v50, v118, v119, v50                            // 0000000094C4: D1D30032 04CAEF76
	v_max3_f32 v50, v120, v121, v50                            // 0000000094CC: D1D30032 04CAF378
	v_max3_f32 v50, v122, v123, v50                            // 0000000094D4: D1D30032 04CAF77A
	v_max3_f32 v50, v124, v125, v50                            // 0000000094DC: D1D30032 04CAFB7C
	v_max3_f32 v50, v126, v127, v50                            // 0000000094E4: D1D30032 04CAFF7E
	ds_write_b32 v11, v50                                      // 0000000094EC: D81A0000 0000320B
	s_waitcnt lgkmcnt(0)                                       // 0000000094F4: BF8CC07F
	s_barrier                                                  // 0000000094F8: BF8A0000
	ds_read_b32 v64, v10                                       // 0000000094FC: D86C0000 4000000A
	ds_read_b32 v65, v10 offset:64                             // 000000009504: D86C0040 4100000A
	ds_read_b32 v66, v10 offset:128                            // 00000000950C: D86C0080 4200000A
	ds_read_b32 v67, v10 offset:192                            // 000000009514: D86C00C0 4300000A
	ds_read_b32 v68, v10 offset:256                            // 00000000951C: D86C0100 4400000A
	ds_read_b32 v69, v10 offset:320                            // 000000009524: D86C0140 4500000A
	ds_read_b32 v70, v10 offset:384                            // 00000000952C: D86C0180 4600000A
	ds_read_b32 v71, v10 offset:448                            // 000000009534: D86C01C0 4700000A
	ds_read_b32 v72, v10 offset:512                            // 00000000953C: D86C0200 4800000A
	ds_read_b32 v73, v10 offset:576                            // 000000009544: D86C0240 4900000A
	ds_read_b32 v74, v10 offset:640                            // 00000000954C: D86C0280 4A00000A
	ds_read_b32 v75, v10 offset:704                            // 000000009554: D86C02C0 4B00000A
	ds_read_b32 v76, v10 offset:768                            // 00000000955C: D86C0300 4C00000A
	ds_read_b32 v77, v10 offset:832                            // 000000009564: D86C0340 4D00000A
	ds_read_b32 v78, v10 offset:896                            // 00000000956C: D86C0380 4E00000A
	ds_read_b32 v79, v10 offset:960                            // 000000009574: D86C03C0 4F00000A
	s_waitcnt lgkmcnt(0)                                       // 00000000957C: BF8CC07F
	v_max3_f32 v50, v64, v65, v50                              // 000000009580: D1D30032 04CA8340
	v_max3_f32 v50, v66, v67, v50                              // 000000009588: D1D30032 04CA8742
	v_max3_f32 v50, v68, v69, v50                              // 000000009590: D1D30032 04CA8B44
	v_max3_f32 v50, v70, v71, v50                              // 000000009598: D1D30032 04CA8F46
	v_max3_f32 v50, v72, v73, v50                              // 0000000095A0: D1D30032 04CA9348
	v_max3_f32 v50, v74, v75, v50                              // 0000000095A8: D1D30032 04CA974A
	v_max3_f32 v50, v76, v77, v50                              // 0000000095B0: D1D30032 04CA9B4C
	v_max3_f32 v50, v78, v79, v50                              // 0000000095B8: D1D30032 04CA9F4E
	v_cmp_eq_u32_e64 s[40:41], v55, v14                        // 0000000095C0: D0CA0028 00021D37
	s_nop 1                                                    // 0000000095C8: BF800001
	v_max_f32_e32 v16, v50, v14                                // 0000000095CC: 16201D32
	v_sub_f32_e32 v51, v14, v16                                // 0000000095D0: 0466210E
	v_cndmask_b32_e64 v51, v51, 0, s[40:41]                    // 0000000095D4: D1000033 00A10133
	v_mov_b32_e32 v14, v16                                     // 0000000095DC: 7E1C0310
	v_mul_f32_e32 v53, s64, v16                                // 0000000095E0: 0A6A2040
	v_mul_f32_e32 v51, s64, v51                                // 0000000095E4: 0A666640
	v_exp_f32_e32 v51, v51                                     // 0000000095E8: 7E664133
	v_fma_f32 v112, v112, s64, -v53                            // 0000000095EC: D1CB0070 84D48170
	v_fma_f32 v113, v113, s64, -v53                            // 0000000095F4: D1CB0071 84D48171
	v_fma_f32 v114, v114, s64, -v53                            // 0000000095FC: D1CB0072 84D48172
	v_fma_f32 v115, v115, s64, -v53                            // 000000009604: D1CB0073 84D48173
	v_fma_f32 v116, v116, s64, -v53                            // 00000000960C: D1CB0074 84D48174
	v_fma_f32 v117, v117, s64, -v53                            // 000000009614: D1CB0075 84D48175
	v_fma_f32 v118, v118, s64, -v53                            // 00000000961C: D1CB0076 84D48176
	v_fma_f32 v119, v119, s64, -v53                            // 000000009624: D1CB0077 84D48177
	v_fma_f32 v120, v120, s64, -v53                            // 00000000962C: D1CB0078 84D48178
	v_fma_f32 v121, v121, s64, -v53                            // 000000009634: D1CB0079 84D48179
	v_fma_f32 v122, v122, s64, -v53                            // 00000000963C: D1CB007A 84D4817A
	v_fma_f32 v123, v123, s64, -v53                            // 000000009644: D1CB007B 84D4817B
	v_fma_f32 v124, v124, s64, -v53                            // 00000000964C: D1CB007C 84D4817C
	v_fma_f32 v125, v125, s64, -v53                            // 000000009654: D1CB007D 84D4817D
	v_fma_f32 v126, v126, s64, -v53                            // 00000000965C: D1CB007E 84D4817E
	v_fma_f32 v127, v127, s64, -v53                            // 000000009664: D1CB007F 84D4817F
	v_exp_f32_e32 v112, v112                                   // 00000000966C: 7EE04170
	v_exp_f32_e32 v113, v113                                   // 000000009670: 7EE24171
	v_exp_f32_e32 v114, v114                                   // 000000009674: 7EE44172
	v_exp_f32_e32 v115, v115                                   // 000000009678: 7EE64173
	v_exp_f32_e32 v116, v116                                   // 00000000967C: 7EE84174
	v_exp_f32_e32 v117, v117                                   // 000000009680: 7EEA4175
	v_exp_f32_e32 v118, v118                                   // 000000009684: 7EEC4176
	v_exp_f32_e32 v119, v119                                   // 000000009688: 7EEE4177
	v_exp_f32_e32 v120, v120                                   // 00000000968C: 7EF04178
	v_exp_f32_e32 v121, v121                                   // 000000009690: 7EF24179
	v_exp_f32_e32 v122, v122                                   // 000000009694: 7EF4417A
	v_exp_f32_e32 v123, v123                                   // 000000009698: 7EF6417B
	v_exp_f32_e32 v124, v124                                   // 00000000969C: 7EF8417C
	v_exp_f32_e32 v125, v125                                   // 0000000096A0: 7EFA417D
	v_exp_f32_e32 v126, v126                                   // 0000000096A4: 7EFC417E
	v_exp_f32_e32 v127, v127                                   // 0000000096A8: 7EFE417F
	v_mul_f32_e32 v43, v51, v43                                // 0000000096AC: 0A565733
	v_mov_b32_e32 v45, v112                                    // 0000000096B0: 7E5A0370
	v_add_f32_e32 v45, v113, v45                               // 0000000096B4: 025A5B71
	v_add_f32_e32 v45, v114, v45                               // 0000000096B8: 025A5B72
	v_add_f32_e32 v45, v115, v45                               // 0000000096BC: 025A5B73
	v_add_f32_e32 v45, v116, v45                               // 0000000096C0: 025A5B74
	v_add_f32_e32 v45, v117, v45                               // 0000000096C4: 025A5B75
	v_add_f32_e32 v45, v118, v45                               // 0000000096C8: 025A5B76
	v_add_f32_e32 v45, v119, v45                               // 0000000096CC: 025A5B77
	v_add_f32_e32 v45, v120, v45                               // 0000000096D0: 025A5B78
	v_add_f32_e32 v45, v121, v45                               // 0000000096D4: 025A5B79
	v_add_f32_e32 v45, v122, v45                               // 0000000096D8: 025A5B7A
	v_add_f32_e32 v45, v123, v45                               // 0000000096DC: 025A5B7B
	v_add_f32_e32 v45, v124, v45                               // 0000000096E0: 025A5B7C
	v_add_f32_e32 v45, v125, v45                               // 0000000096E4: 025A5B7D
	v_add_f32_e32 v45, v126, v45                               // 0000000096E8: 025A5B7E
	v_add_f32_e32 v45, v127, v45                               // 0000000096EC: 025A5B7F
	v_add_f32_e32 v43, v45, v43                                // 0000000096F0: 0256572D
	v_cmp_u_f32_e64 s[40:41], v112, v112                       // 0000000096F4: D0480028 0002E170
	v_add3_u32 v19, v112, v22, 1                               // 0000000096FC: D1FF0013 02062D70
	v_cndmask_b32_e64 v39, v19, v21, s[40:41]                  // 000000009704: D1000027 00A22B13
	v_cmp_u_f32_e64 s[40:41], v113, v113                       // 00000000970C: D0480028 0002E371
	v_add3_u32 v19, v113, v22, 1                               // 000000009714: D1FF0013 02062D71
	v_cndmask_b32_e64 v40, v19, v21, s[40:41]                  // 00000000971C: D1000028 00A22B13
	v_perm_b32 v112, v40, v39, s52                             // 000000009724: D1ED0070 00D24F28
	v_cmp_u_f32_e64 s[40:41], v114, v114                       // 00000000972C: D0480028 0002E572
	v_add3_u32 v19, v114, v22, 1                               // 000000009734: D1FF0013 02062D72
	v_cndmask_b32_e64 v39, v19, v21, s[40:41]                  // 00000000973C: D1000027 00A22B13
	v_cmp_u_f32_e64 s[40:41], v115, v115                       // 000000009744: D0480028 0002E773
	v_add3_u32 v19, v115, v22, 1                               // 00000000974C: D1FF0013 02062D73
	v_cndmask_b32_e64 v40, v19, v21, s[40:41]                  // 000000009754: D1000028 00A22B13
	v_perm_b32 v113, v40, v39, s52                             // 00000000975C: D1ED0071 00D24F28
	v_cmp_u_f32_e64 s[40:41], v116, v116                       // 000000009764: D0480028 0002E974
	v_add3_u32 v19, v116, v22, 1                               // 00000000976C: D1FF0013 02062D74
	v_cndmask_b32_e64 v39, v19, v21, s[40:41]                  // 000000009774: D1000027 00A22B13
	v_cmp_u_f32_e64 s[40:41], v117, v117                       // 00000000977C: D0480028 0002EB75
	v_add3_u32 v19, v117, v22, 1                               // 000000009784: D1FF0013 02062D75
	v_cndmask_b32_e64 v40, v19, v21, s[40:41]                  // 00000000978C: D1000028 00A22B13
	v_perm_b32 v114, v40, v39, s52                             // 000000009794: D1ED0072 00D24F28
	v_cmp_u_f32_e64 s[40:41], v118, v118                       // 00000000979C: D0480028 0002ED76
	v_add3_u32 v19, v118, v22, 1                               // 0000000097A4: D1FF0013 02062D76
	v_cndmask_b32_e64 v39, v19, v21, s[40:41]                  // 0000000097AC: D1000027 00A22B13
	v_cmp_u_f32_e64 s[40:41], v119, v119                       // 0000000097B4: D0480028 0002EF77
	v_add3_u32 v19, v119, v22, 1                               // 0000000097BC: D1FF0013 02062D77
	v_cndmask_b32_e64 v40, v19, v21, s[40:41]                  // 0000000097C4: D1000028 00A22B13
	v_perm_b32 v115, v40, v39, s52                             // 0000000097CC: D1ED0073 00D24F28
	v_cmp_u_f32_e64 s[40:41], v120, v120                       // 0000000097D4: D0480028 0002F178
	v_add3_u32 v19, v120, v22, 1                               // 0000000097DC: D1FF0013 02062D78
	v_cndmask_b32_e64 v39, v19, v21, s[40:41]                  // 0000000097E4: D1000027 00A22B13
	v_cmp_u_f32_e64 s[40:41], v121, v121                       // 0000000097EC: D0480028 0002F379
	v_add3_u32 v19, v121, v22, 1                               // 0000000097F4: D1FF0013 02062D79
	v_cndmask_b32_e64 v40, v19, v21, s[40:41]                  // 0000000097FC: D1000028 00A22B13
	v_perm_b32 v116, v40, v39, s52                             // 000000009804: D1ED0074 00D24F28
	v_cmp_u_f32_e64 s[40:41], v122, v122                       // 00000000980C: D0480028 0002F57A
	v_add3_u32 v19, v122, v22, 1                               // 000000009814: D1FF0013 02062D7A
	v_cndmask_b32_e64 v39, v19, v21, s[40:41]                  // 00000000981C: D1000027 00A22B13
	v_cmp_u_f32_e64 s[40:41], v123, v123                       // 000000009824: D0480028 0002F77B
	v_add3_u32 v19, v123, v22, 1                               // 00000000982C: D1FF0013 02062D7B
	v_cndmask_b32_e64 v40, v19, v21, s[40:41]                  // 000000009834: D1000028 00A22B13
	v_perm_b32 v117, v40, v39, s52                             // 00000000983C: D1ED0075 00D24F28
	v_cmp_u_f32_e64 s[40:41], v124, v124                       // 000000009844: D0480028 0002F97C
	v_add3_u32 v19, v124, v22, 1                               // 00000000984C: D1FF0013 02062D7C
	v_cndmask_b32_e64 v39, v19, v21, s[40:41]                  // 000000009854: D1000027 00A22B13
	v_cmp_u_f32_e64 s[40:41], v125, v125                       // 00000000985C: D0480028 0002FB7D
	v_add3_u32 v19, v125, v22, 1                               // 000000009864: D1FF0013 02062D7D
	v_cndmask_b32_e64 v40, v19, v21, s[40:41]                  // 00000000986C: D1000028 00A22B13
	v_perm_b32 v118, v40, v39, s52                             // 000000009874: D1ED0076 00D24F28
	v_cmp_u_f32_e64 s[40:41], v126, v126                       // 00000000987C: D0480028 0002FD7E
	v_add3_u32 v19, v126, v22, 1                               // 000000009884: D1FF0013 02062D7E
	v_cndmask_b32_e64 v39, v19, v21, s[40:41]                  // 00000000988C: D1000027 00A22B13
	v_cmp_u_f32_e64 s[40:41], v127, v127                       // 000000009894: D0480028 0002FF7F
	v_add3_u32 v19, v127, v22, 1                               // 00000000989C: D1FF0013 02062D7F
	v_cndmask_b32_e64 v40, v19, v21, s[40:41]                  // 0000000098A4: D1000028 00A22B13
	v_perm_b32 v119, v40, v39, s52                             // 0000000098AC: D1ED0077 00D24F28
	ds_write_b64 v13, v[112:113] offset:4096                   // 0000000098B4: D89A1000 0000700D
	ds_write_b64 v13, v[114:115] offset:6144                   // 0000000098BC: D89A1800 0000720D
	ds_write_b64 v13, v[116:117] offset:8192                   // 0000000098C4: D89A2000 0000740D
	ds_write_b64 v13, v[118:119] offset:10240                  // 0000000098CC: D89A2800 0000760D
	s_waitcnt lgkmcnt(0)                                       // 0000000098D4: BF8CC07F
	s_barrier                                                  // 0000000098D8: BF8A0000
	ds_read_b64 v[112:113], v12 offset:4096                    // 0000000098DC: D8EC1000 7000000C
	ds_read_b64 v[114:115], v12 offset:4224                    // 0000000098E4: D8EC1080 7200000C
	ds_read_b64 v[116:117], v12 offset:5120                    // 0000000098EC: D8EC1400 7400000C
	ds_read_b64 v[118:119], v12 offset:5248                    // 0000000098F4: D8EC1480 7600000C
	ds_read_b64 v[120:121], v12 offset:6144                    // 0000000098FC: D8EC1800 7800000C
	ds_read_b64 v[122:123], v12 offset:6272                    // 000000009904: D8EC1880 7A00000C
	ds_read_b64 v[124:125], v12 offset:7168                    // 00000000990C: D8EC1C00 7C00000C
	ds_read_b64 v[126:127], v12 offset:7296                    // 000000009914: D8EC1C80 7E00000C
	ds_read_b64 v[128:129], v12 offset:8192                    // 00000000991C: D8EC2000 8000000C
	ds_read_b64 v[130:131], v12 offset:8320                    // 000000009924: D8EC2080 8200000C
	ds_read_b64 v[132:133], v12 offset:9216                    // 00000000992C: D8EC2400 8400000C
	ds_read_b64 v[134:135], v12 offset:9344                    // 000000009934: D8EC2480 8600000C
	ds_read_b64 v[136:137], v12 offset:10240                   // 00000000993C: D8EC2800 8800000C
	ds_read_b64 v[138:139], v12 offset:10368                   // 000000009944: D8EC2880 8A00000C
	ds_read_b64 v[140:141], v12 offset:11264                   // 00000000994C: D8EC2C00 8C00000C
	ds_read_b64 v[142:143], v12 offset:11392                   // 000000009954: D8EC2C80 8E00000C
	s_waitcnt lgkmcnt(0)                                       // 00000000995C: BF8CC07F
	v_mul_f32_e32 v176, v51, v176                              // 000000009960: 0B616133
	v_mul_f32_e32 v177, v51, v177                              // 000000009964: 0B636333
	v_mul_f32_e32 v178, v51, v178                              // 000000009968: 0B656533
	v_mul_f32_e32 v179, v51, v179                              // 00000000996C: 0B676733
	v_mul_f32_e32 v180, v51, v180                              // 000000009970: 0B696933
	v_mul_f32_e32 v181, v51, v181                              // 000000009974: 0B6B6B33
	v_mul_f32_e32 v182, v51, v182                              // 000000009978: 0B6D6D33
	v_mul_f32_e32 v183, v51, v183                              // 00000000997C: 0B6F6F33
	s_waitcnt vmcnt(0)                                         // 000000009980: BF8C0F70
	s_barrier                                                  // 000000009984: BF8A0000
	v_mfma_f32_16x16x16_bf16 v[176:179], a[128:129], v[112:113], v[176:179]// 000000009988: D3E100B0 0EC2E180
	v_mfma_f32_16x16x16_bf16 v[176:179], a[130:131], v[114:115], v[176:179]// 000000009990: D3E100B0 0EC2E582
	v_mfma_f32_16x16x16_bf16 v[176:179], a[132:133], v[116:117], v[176:179]// 000000009998: D3E100B0 0EC2E984
	v_mfma_f32_16x16x16_bf16 v[176:179], a[134:135], v[118:119], v[176:179]// 0000000099A0: D3E100B0 0EC2ED86
	v_mfma_f32_16x16x16_bf16 v[176:179], a[136:137], v[120:121], v[176:179]// 0000000099A8: D3E100B0 0EC2F188
	v_mfma_f32_16x16x16_bf16 v[176:179], a[138:139], v[122:123], v[176:179]// 0000000099B0: D3E100B0 0EC2F58A
	v_mfma_f32_16x16x16_bf16 v[176:179], a[140:141], v[124:125], v[176:179]// 0000000099B8: D3E100B0 0EC2F98C
	v_mfma_f32_16x16x16_bf16 v[176:179], a[142:143], v[126:127], v[176:179]// 0000000099C0: D3E100B0 0EC2FD8E
	v_mfma_f32_16x16x16_bf16 v[176:179], a[144:145], v[128:129], v[176:179]// 0000000099C8: D3E100B0 0EC30190
	v_mfma_f32_16x16x16_bf16 v[176:179], a[146:147], v[130:131], v[176:179]// 0000000099D0: D3E100B0 0EC30592
	v_mfma_f32_16x16x16_bf16 v[176:179], a[148:149], v[132:133], v[176:179]// 0000000099D8: D3E100B0 0EC30994
	v_mfma_f32_16x16x16_bf16 v[176:179], a[150:151], v[134:135], v[176:179]// 0000000099E0: D3E100B0 0EC30D96
	v_mfma_f32_16x16x16_bf16 v[176:179], a[152:153], v[136:137], v[176:179]// 0000000099E8: D3E100B0 0EC31198
	v_mfma_f32_16x16x16_bf16 v[176:179], a[154:155], v[138:139], v[176:179]// 0000000099F0: D3E100B0 0EC3159A
	v_mfma_f32_16x16x16_bf16 v[176:179], a[156:157], v[140:141], v[176:179]// 0000000099F8: D3E100B0 0EC3199C
	v_mfma_f32_16x16x16_bf16 v[176:179], a[158:159], v[142:143], v[176:179]// 000000009A00: D3E100B0 0EC31D9E
	v_mfma_f32_16x16x16_bf16 v[180:183], a[160:161], v[112:113], v[180:183]// 000000009A08: D3E100B4 0ED2E1A0
	v_mfma_f32_16x16x16_bf16 v[180:183], a[162:163], v[114:115], v[180:183]// 000000009A10: D3E100B4 0ED2E5A2
	v_mfma_f32_16x16x16_bf16 v[180:183], a[164:165], v[116:117], v[180:183]// 000000009A18: D3E100B4 0ED2E9A4
	v_mfma_f32_16x16x16_bf16 v[180:183], a[166:167], v[118:119], v[180:183]// 000000009A20: D3E100B4 0ED2EDA6
	v_mfma_f32_16x16x16_bf16 v[180:183], a[168:169], v[120:121], v[180:183]// 000000009A28: D3E100B4 0ED2F1A8
	v_mfma_f32_16x16x16_bf16 v[180:183], a[170:171], v[122:123], v[180:183]// 000000009A30: D3E100B4 0ED2F5AA
	v_mfma_f32_16x16x16_bf16 v[180:183], a[172:173], v[124:125], v[180:183]// 000000009A38: D3E100B4 0ED2F9AC
	v_mfma_f32_16x16x16_bf16 v[180:183], a[174:175], v[126:127], v[180:183]// 000000009A40: D3E100B4 0ED2FDAE
	v_mfma_f32_16x16x16_bf16 v[180:183], a[176:177], v[128:129], v[180:183]// 000000009A48: D3E100B4 0ED301B0
	v_mfma_f32_16x16x16_bf16 v[180:183], a[178:179], v[130:131], v[180:183]// 000000009A50: D3E100B4 0ED305B2
	v_mfma_f32_16x16x16_bf16 v[180:183], a[180:181], v[132:133], v[180:183]// 000000009A58: D3E100B4 0ED309B4
	v_mfma_f32_16x16x16_bf16 v[180:183], a[182:183], v[134:135], v[180:183]// 000000009A60: D3E100B4 0ED30DB6
	v_mfma_f32_16x16x16_bf16 v[180:183], a[184:185], v[136:137], v[180:183]// 000000009A68: D3E100B4 0ED311B8
	v_mfma_f32_16x16x16_bf16 v[180:183], a[186:187], v[138:139], v[180:183]// 000000009A70: D3E100B4 0ED315BA
	v_mfma_f32_16x16x16_bf16 v[180:183], a[188:189], v[140:141], v[180:183]// 000000009A78: D3E100B4 0ED319BC
	v_mfma_f32_16x16x16_bf16 v[180:183], a[190:191], v[142:143], v[180:183]// 000000009A80: D3E100B4 0ED31DBE
	s_nop 8                                                    // 000000009A88: BF800008
	s_branch label_20C3                                        // 000000009A8C: BF82029E

0000000000009a90 <label_1E25>:
	s_waitcnt vmcnt(16) lgkmcnt(0)                             // 000000009A90: BF8C4070
	s_barrier                                                  // 000000009A94: BF8A0000
	v_mfma_f32_16x16x16_bf16 v[112:115], a[64:65], v[80:81], 0 // 000000009A98: D3E10070 0A02A140
	v_mfma_f32_16x16x16_bf16 v[112:115], a[66:67], v[82:83], v[112:115]// 000000009AA0: D3E10070 0DC2A542
	v_mfma_f32_16x16x16_bf16 v[112:115], a[68:69], v[84:85], v[112:115]// 000000009AA8: D3E10070 0DC2A944
	v_mfma_f32_16x16x16_bf16 v[112:115], a[70:71], v[86:87], v[112:115]// 000000009AB0: D3E10070 0DC2AD46
	v_mfma_f32_16x16x16_bf16 v[112:115], a[72:73], v[88:89], v[112:115]// 000000009AB8: D3E10070 0DC2B148
	v_mfma_f32_16x16x16_bf16 v[112:115], a[74:75], v[90:91], v[112:115]// 000000009AC0: D3E10070 0DC2B54A
	v_mfma_f32_16x16x16_bf16 v[112:115], a[76:77], v[92:93], v[112:115]// 000000009AC8: D3E10070 0DC2B94C
	v_mfma_f32_16x16x16_bf16 v[112:115], a[78:79], v[94:95], v[112:115]// 000000009AD0: D3E10070 0DC2BD4E
	v_mfma_f32_16x16x16_bf16 v[116:119], a[80:81], v[80:81], 0 // 000000009AD8: D3E10074 0A02A150
	v_mfma_f32_16x16x16_bf16 v[116:119], a[82:83], v[82:83], v[116:119]// 000000009AE0: D3E10074 0DD2A552
	v_mfma_f32_16x16x16_bf16 v[116:119], a[84:85], v[84:85], v[116:119]// 000000009AE8: D3E10074 0DD2A954
	v_mfma_f32_16x16x16_bf16 v[116:119], a[86:87], v[86:87], v[116:119]// 000000009AF0: D3E10074 0DD2AD56
	v_mfma_f32_16x16x16_bf16 v[116:119], a[88:89], v[88:89], v[116:119]// 000000009AF8: D3E10074 0DD2B158
	v_mfma_f32_16x16x16_bf16 v[116:119], a[90:91], v[90:91], v[116:119]// 000000009B00: D3E10074 0DD2B55A
	v_mfma_f32_16x16x16_bf16 v[116:119], a[92:93], v[92:93], v[116:119]// 000000009B08: D3E10074 0DD2B95C
	v_mfma_f32_16x16x16_bf16 v[116:119], a[94:95], v[94:95], v[116:119]// 000000009B10: D3E10074 0DD2BD5E
	v_mfma_f32_16x16x16_bf16 v[120:123], a[96:97], v[80:81], 0 // 000000009B18: D3E10078 0A02A160
	v_mfma_f32_16x16x16_bf16 v[120:123], a[98:99], v[82:83], v[120:123]// 000000009B20: D3E10078 0DE2A562
	v_mfma_f32_16x16x16_bf16 v[120:123], a[100:101], v[84:85], v[120:123]// 000000009B28: D3E10078 0DE2A964
	v_mfma_f32_16x16x16_bf16 v[120:123], a[102:103], v[86:87], v[120:123]// 000000009B30: D3E10078 0DE2AD66
	v_mfma_f32_16x16x16_bf16 v[120:123], a[104:105], v[88:89], v[120:123]// 000000009B38: D3E10078 0DE2B168
	v_mfma_f32_16x16x16_bf16 v[120:123], a[106:107], v[90:91], v[120:123]// 000000009B40: D3E10078 0DE2B56A
	v_mfma_f32_16x16x16_bf16 v[120:123], a[108:109], v[92:93], v[120:123]// 000000009B48: D3E10078 0DE2B96C
	v_mfma_f32_16x16x16_bf16 v[120:123], a[110:111], v[94:95], v[120:123]// 000000009B50: D3E10078 0DE2BD6E
	v_mfma_f32_16x16x16_bf16 v[124:127], a[112:113], v[80:81], 0// 000000009B58: D3E1007C 0A02A170
	v_mfma_f32_16x16x16_bf16 v[124:127], a[114:115], v[82:83], v[124:127]// 000000009B60: D3E1007C 0DF2A572
	v_mfma_f32_16x16x16_bf16 v[124:127], a[116:117], v[84:85], v[124:127]// 000000009B68: D3E1007C 0DF2A974
	v_mfma_f32_16x16x16_bf16 v[124:127], a[118:119], v[86:87], v[124:127]// 000000009B70: D3E1007C 0DF2AD76
	v_mfma_f32_16x16x16_bf16 v[124:127], a[120:121], v[88:89], v[124:127]// 000000009B78: D3E1007C 0DF2B178
	v_mfma_f32_16x16x16_bf16 v[124:127], a[122:123], v[90:91], v[124:127]// 000000009B80: D3E1007C 0DF2B57A
	v_mfma_f32_16x16x16_bf16 v[124:127], a[124:125], v[92:93], v[124:127]// 000000009B88: D3E1007C 0DF2B97C
	v_mfma_f32_16x16x16_bf16 v[124:127], a[126:127], v[94:95], v[124:127]// 000000009B90: D3E1007C 0DF2BD7E
	s_cmp_le_i32 s90, s89                                      // 000000009B98: BF05595A
	s_cbranch_scc1 label_1EDC                                  // 000000009B9C: BF850073
	v_mov_b32_e32 v55, 0xff800000                              // 000000009BA0: 7E6E02FF FF800000
	s_mov_b32 s60, s90                                         // 000000009BA8: BEBC005A
	s_add_u32 s61, s89, 0xff                                   // 000000009BAC: 803DFF59 000000FF
	v_mov_b32_e32 v39, s61                                     // 000000009BB4: 7E4E023D
	v_lshrrev_b32_e32 v31, 4, v0                               // 000000009BB8: 203E0084
	v_mul_i32_i24_e32 v31, 4, v31                              // 000000009BBC: 0C3E3E84
	v_add_u32_e32 v31, s60, v31                                // 000000009BC0: 683E3E3C
	v_and_b32_e32 v40, 15, v0                                  // 000000009BC4: 2650008F
	v_lshrrev_b32_e32 v40, 3, v40                              // 000000009BC8: 20505083
	s_mov_b32 s61, 0                                           // 000000009BCC: BEBD0080
	s_mul_i32 s60, 16, s7                                      // 000000009BD0: 923C0790
	v_add_u32_e32 v40, s61, v40                                // 000000009BD4: 6850503D
	v_sub_u32_e32 v31, v31, v40                                // 000000009BD8: 6A3E511F
	v_add_u32_e32 v31, s60, v31                                // 000000009BDC: 683E3E3C
	v_add_u32_e32 v32, 1, v31                                  // 000000009BE0: 68403E81
	v_add_u32_e32 v33, 2, v31                                  // 000000009BE4: 68423E82
	v_add_u32_e32 v34, 3, v31                                  // 000000009BE8: 68443E83
	v_cmp_le_u32_e64 s[40:41], v31, v39                        // 000000009BEC: D0CB0028 00024F1F
	v_add_u32_e32 v31, 64, v31                                 // 000000009BF4: 683E3EC0
	s_nop 0                                                    // 000000009BF8: BF800000
	v_cndmask_b32_e64 v112, v55, v112, s[40:41]                // 000000009BFC: D1000070 00A2E137
	v_cmp_le_u32_e64 s[40:41], v32, v39                        // 000000009C04: D0CB0028 00024F20
	v_add_u32_e32 v32, 64, v32                                 // 000000009C0C: 684040C0
	s_nop 0                                                    // 000000009C10: BF800000
	v_cndmask_b32_e64 v113, v55, v113, s[40:41]                // 000000009C14: D1000071 00A2E337
	v_cmp_le_u32_e64 s[40:41], v33, v39                        // 000000009C1C: D0CB0028 00024F21
	v_add_u32_e32 v33, 64, v33                                 // 000000009C24: 684242C0
	s_nop 0                                                    // 000000009C28: BF800000
	v_cndmask_b32_e64 v114, v55, v114, s[40:41]                // 000000009C2C: D1000072 00A2E537
	v_cmp_le_u32_e64 s[40:41], v34, v39                        // 000000009C34: D0CB0028 00024F22
	v_add_u32_e32 v34, 64, v34                                 // 000000009C3C: 684444C0
	s_nop 0                                                    // 000000009C40: BF800000
	v_cndmask_b32_e64 v115, v55, v115, s[40:41]                // 000000009C44: D1000073 00A2E737
	v_cmp_le_u32_e64 s[40:41], v31, v39                        // 000000009C4C: D0CB0028 00024F1F
	v_add_u32_e32 v31, 64, v31                                 // 000000009C54: 683E3EC0
	s_nop 0                                                    // 000000009C58: BF800000
	v_cndmask_b32_e64 v116, v55, v116, s[40:41]                // 000000009C5C: D1000074 00A2E937
	v_cmp_le_u32_e64 s[40:41], v32, v39                        // 000000009C64: D0CB0028 00024F20
	v_add_u32_e32 v32, 64, v32                                 // 000000009C6C: 684040C0
	s_nop 0                                                    // 000000009C70: BF800000
	v_cndmask_b32_e64 v117, v55, v117, s[40:41]                // 000000009C74: D1000075 00A2EB37
	v_cmp_le_u32_e64 s[40:41], v33, v39                        // 000000009C7C: D0CB0028 00024F21
	v_add_u32_e32 v33, 64, v33                                 // 000000009C84: 684242C0
	s_nop 0                                                    // 000000009C88: BF800000
	v_cndmask_b32_e64 v118, v55, v118, s[40:41]                // 000000009C8C: D1000076 00A2ED37
	v_cmp_le_u32_e64 s[40:41], v34, v39                        // 000000009C94: D0CB0028 00024F22
	v_add_u32_e32 v34, 64, v34                                 // 000000009C9C: 684444C0
	s_nop 0                                                    // 000000009CA0: BF800000
	v_cndmask_b32_e64 v119, v55, v119, s[40:41]                // 000000009CA4: D1000077 00A2EF37
	v_cmp_le_u32_e64 s[40:41], v31, v39                        // 000000009CAC: D0CB0028 00024F1F
	v_add_u32_e32 v31, 64, v31                                 // 000000009CB4: 683E3EC0
	s_nop 0                                                    // 000000009CB8: BF800000
	v_cndmask_b32_e64 v120, v55, v120, s[40:41]                // 000000009CBC: D1000078 00A2F137
	v_cmp_le_u32_e64 s[40:41], v32, v39                        // 000000009CC4: D0CB0028 00024F20
	v_add_u32_e32 v32, 64, v32                                 // 000000009CCC: 684040C0
	s_nop 0                                                    // 000000009CD0: BF800000
	v_cndmask_b32_e64 v121, v55, v121, s[40:41]                // 000000009CD4: D1000079 00A2F337
	v_cmp_le_u32_e64 s[40:41], v33, v39                        // 000000009CDC: D0CB0028 00024F21
	v_add_u32_e32 v33, 64, v33                                 // 000000009CE4: 684242C0
	s_nop 0                                                    // 000000009CE8: BF800000
	v_cndmask_b32_e64 v122, v55, v122, s[40:41]                // 000000009CEC: D100007A 00A2F537
	v_cmp_le_u32_e64 s[40:41], v34, v39                        // 000000009CF4: D0CB0028 00024F22
	v_add_u32_e32 v34, 64, v34                                 // 000000009CFC: 684444C0
	s_nop 0                                                    // 000000009D00: BF800000
	v_cndmask_b32_e64 v123, v55, v123, s[40:41]                // 000000009D04: D100007B 00A2F737
	v_cmp_le_u32_e64 s[40:41], v31, v39                        // 000000009D0C: D0CB0028 00024F1F
	v_add_u32_e32 v31, 64, v31                                 // 000000009D14: 683E3EC0
	s_nop 0                                                    // 000000009D18: BF800000
	v_cndmask_b32_e64 v124, v55, v124, s[40:41]                // 000000009D1C: D100007C 00A2F937
	v_cmp_le_u32_e64 s[40:41], v32, v39                        // 000000009D24: D0CB0028 00024F20
	v_add_u32_e32 v32, 64, v32                                 // 000000009D2C: 684040C0
	s_nop 0                                                    // 000000009D30: BF800000
	v_cndmask_b32_e64 v125, v55, v125, s[40:41]                // 000000009D34: D100007D 00A2FB37
	v_cmp_le_u32_e64 s[40:41], v33, v39                        // 000000009D3C: D0CB0028 00024F21
	v_add_u32_e32 v33, 64, v33                                 // 000000009D44: 684242C0
	s_nop 0                                                    // 000000009D48: BF800000
	v_cndmask_b32_e64 v126, v55, v126, s[40:41]                // 000000009D4C: D100007E 00A2FD37
	v_cmp_le_u32_e64 s[40:41], v34, v39                        // 000000009D54: D0CB0028 00024F22
	v_add_u32_e32 v34, 64, v34                                 // 000000009D5C: 684444C0
	s_nop 0                                                    // 000000009D60: BF800000
	v_cndmask_b32_e64 v127, v55, v127, s[40:41]                // 000000009D64: D100007F 00A2FF37

0000000000009d6c <label_1EDC>:
	s_nop 8                                                    // 000000009D6C: BF800008
	s_and_b32 s60, s72, 0xff                                   // 000000009D70: 863CFF48 000000FF
	v_mov_b32_e32 v56, s60                                     // 000000009D78: 7E70023C
	v_lshrrev_b32_e32 v31, 4, v0                               // 000000009D7C: 203E0084
	v_mul_i32_i24_e32 v31, 4, v31                              // 000000009D80: 0C3E3E84
	s_mul_i32 s60, s7, 16                                      // 000000009D84: 923C9007
	v_add_u32_e32 v31, s60, v31                                // 000000009D88: 683E3E3C
	v_add_u32_e32 v32, 1, v31                                  // 000000009D8C: 68403E81
	v_add_u32_e32 v33, 2, v31                                  // 000000009D90: 68423E82
	v_add_u32_e32 v34, 3, v31                                  // 000000009D94: 68443E83
	v_mov_b32_e32 v39, v55                                     // 000000009D98: 7E4E0337
	v_cmp_lt_u32_e64 s[40:41], v31, v56                        // 000000009D9C: D0C90028 0002711F
	v_add_u32_e32 v31, 64, v31                                 // 000000009DA4: 683E3EC0
	s_nop 0                                                    // 000000009DA8: BF800000
	v_cndmask_b32_e64 v112, v39, v112, s[40:41]                // 000000009DAC: D1000070 00A2E127
	v_cmp_lt_u32_e64 s[40:41], v32, v56                        // 000000009DB4: D0C90028 00027120
	v_add_u32_e32 v32, 64, v32                                 // 000000009DBC: 684040C0
	s_nop 0                                                    // 000000009DC0: BF800000
	v_cndmask_b32_e64 v113, v39, v113, s[40:41]                // 000000009DC4: D1000071 00A2E327
	v_cmp_lt_u32_e64 s[40:41], v33, v56                        // 000000009DCC: D0C90028 00027121
	v_add_u32_e32 v33, 64, v33                                 // 000000009DD4: 684242C0
	s_nop 0                                                    // 000000009DD8: BF800000
	v_cndmask_b32_e64 v114, v39, v114, s[40:41]                // 000000009DDC: D1000072 00A2E527
	v_cmp_lt_u32_e64 s[40:41], v34, v56                        // 000000009DE4: D0C90028 00027122
	v_add_u32_e32 v34, 64, v34                                 // 000000009DEC: 684444C0
	s_nop 0                                                    // 000000009DF0: BF800000
	v_cndmask_b32_e64 v115, v39, v115, s[40:41]                // 000000009DF4: D1000073 00A2E727
	v_cmp_lt_u32_e64 s[40:41], v31, v56                        // 000000009DFC: D0C90028 0002711F
	v_add_u32_e32 v31, 64, v31                                 // 000000009E04: 683E3EC0
	s_nop 0                                                    // 000000009E08: BF800000
	v_cndmask_b32_e64 v116, v39, v116, s[40:41]                // 000000009E0C: D1000074 00A2E927
	v_cmp_lt_u32_e64 s[40:41], v32, v56                        // 000000009E14: D0C90028 00027120
	v_add_u32_e32 v32, 64, v32                                 // 000000009E1C: 684040C0
	s_nop 0                                                    // 000000009E20: BF800000
	v_cndmask_b32_e64 v117, v39, v117, s[40:41]                // 000000009E24: D1000075 00A2EB27
	v_cmp_lt_u32_e64 s[40:41], v33, v56                        // 000000009E2C: D0C90028 00027121
	v_add_u32_e32 v33, 64, v33                                 // 000000009E34: 684242C0
	s_nop 0                                                    // 000000009E38: BF800000
	v_cndmask_b32_e64 v118, v39, v118, s[40:41]                // 000000009E3C: D1000076 00A2ED27
	v_cmp_lt_u32_e64 s[40:41], v34, v56                        // 000000009E44: D0C90028 00027122
	v_add_u32_e32 v34, 64, v34                                 // 000000009E4C: 684444C0
	s_nop 0                                                    // 000000009E50: BF800000
	v_cndmask_b32_e64 v119, v39, v119, s[40:41]                // 000000009E54: D1000077 00A2EF27
	v_cmp_lt_u32_e64 s[40:41], v31, v56                        // 000000009E5C: D0C90028 0002711F
	v_add_u32_e32 v31, 64, v31                                 // 000000009E64: 683E3EC0
	s_nop 0                                                    // 000000009E68: BF800000
	v_cndmask_b32_e64 v120, v39, v120, s[40:41]                // 000000009E6C: D1000078 00A2F127
	v_cmp_lt_u32_e64 s[40:41], v32, v56                        // 000000009E74: D0C90028 00027120
	v_add_u32_e32 v32, 64, v32                                 // 000000009E7C: 684040C0
	s_nop 0                                                    // 000000009E80: BF800000
	v_cndmask_b32_e64 v121, v39, v121, s[40:41]                // 000000009E84: D1000079 00A2F327
	v_cmp_lt_u32_e64 s[40:41], v33, v56                        // 000000009E8C: D0C90028 00027121
	v_add_u32_e32 v33, 64, v33                                 // 000000009E94: 684242C0
	s_nop 0                                                    // 000000009E98: BF800000
	v_cndmask_b32_e64 v122, v39, v122, s[40:41]                // 000000009E9C: D100007A 00A2F527
	v_cmp_lt_u32_e64 s[40:41], v34, v56                        // 000000009EA4: D0C90028 00027122
	v_add_u32_e32 v34, 64, v34                                 // 000000009EAC: 684444C0
	s_nop 0                                                    // 000000009EB0: BF800000
	v_cndmask_b32_e64 v123, v39, v123, s[40:41]                // 000000009EB4: D100007B 00A2F727
	v_cmp_lt_u32_e64 s[40:41], v31, v56                        // 000000009EBC: D0C90028 0002711F
	v_add_u32_e32 v31, 64, v31                                 // 000000009EC4: 683E3EC0
	s_nop 0                                                    // 000000009EC8: BF800000
	v_cndmask_b32_e64 v124, v39, v124, s[40:41]                // 000000009ECC: D100007C 00A2F927
	v_cmp_lt_u32_e64 s[40:41], v32, v56                        // 000000009ED4: D0C90028 00027120
	v_add_u32_e32 v32, 64, v32                                 // 000000009EDC: 684040C0
	s_nop 0                                                    // 000000009EE0: BF800000
	v_cndmask_b32_e64 v125, v39, v125, s[40:41]                // 000000009EE4: D100007D 00A2FB27
	v_cmp_lt_u32_e64 s[40:41], v33, v56                        // 000000009EEC: D0C90028 00027121
	v_add_u32_e32 v33, 64, v33                                 // 000000009EF4: 684242C0
	s_nop 0                                                    // 000000009EF8: BF800000
	v_cndmask_b32_e64 v126, v39, v126, s[40:41]                // 000000009EFC: D100007E 00A2FD27
	v_cmp_lt_u32_e64 s[40:41], v34, v56                        // 000000009F04: D0C90028 00027122
	v_add_u32_e32 v34, 64, v34                                 // 000000009F0C: 684444C0
	s_nop 0                                                    // 000000009F10: BF800000
	v_cndmask_b32_e64 v127, v39, v127, s[40:41]                // 000000009F14: D100007F 00A2FF27
	s_nop 8                                                    // 000000009F1C: BF800008
	v_mov_b32_e32 v50, v112                                    // 000000009F20: 7E640370
	v_max3_f32 v50, v112, v113, v50                            // 000000009F24: D1D30032 04CAE370
	v_max3_f32 v50, v114, v115, v50                            // 000000009F2C: D1D30032 04CAE772
	v_max3_f32 v50, v116, v117, v50                            // 000000009F34: D1D30032 04CAEB74
	v_max3_f32 v50, v118, v119, v50                            // 000000009F3C: D1D30032 04CAEF76
	v_max3_f32 v50, v120, v121, v50                            // 000000009F44: D1D30032 04CAF378
	v_max3_f32 v50, v122, v123, v50                            // 000000009F4C: D1D30032 04CAF77A
	v_max3_f32 v50, v124, v125, v50                            // 000000009F54: D1D30032 04CAFB7C
	v_max3_f32 v50, v126, v127, v50                            // 000000009F5C: D1D30032 04CAFF7E
	ds_write_b32 v11, v50                                      // 000000009F64: D81A0000 0000320B
	s_waitcnt lgkmcnt(0)                                       // 000000009F6C: BF8CC07F
	s_barrier                                                  // 000000009F70: BF8A0000
	ds_read_b32 v64, v10                                       // 000000009F74: D86C0000 4000000A
	ds_read_b32 v65, v10 offset:64                             // 000000009F7C: D86C0040 4100000A
	ds_read_b32 v66, v10 offset:128                            // 000000009F84: D86C0080 4200000A
	ds_read_b32 v67, v10 offset:192                            // 000000009F8C: D86C00C0 4300000A
	ds_read_b32 v68, v10 offset:256                            // 000000009F94: D86C0100 4400000A
	ds_read_b32 v69, v10 offset:320                            // 000000009F9C: D86C0140 4500000A
	ds_read_b32 v70, v10 offset:384                            // 000000009FA4: D86C0180 4600000A
	ds_read_b32 v71, v10 offset:448                            // 000000009FAC: D86C01C0 4700000A
	ds_read_b32 v72, v10 offset:512                            // 000000009FB4: D86C0200 4800000A
	ds_read_b32 v73, v10 offset:576                            // 000000009FBC: D86C0240 4900000A
	ds_read_b32 v74, v10 offset:640                            // 000000009FC4: D86C0280 4A00000A
	ds_read_b32 v75, v10 offset:704                            // 000000009FCC: D86C02C0 4B00000A
	ds_read_b32 v76, v10 offset:768                            // 000000009FD4: D86C0300 4C00000A
	ds_read_b32 v77, v10 offset:832                            // 000000009FDC: D86C0340 4D00000A
	ds_read_b32 v78, v10 offset:896                            // 000000009FE4: D86C0380 4E00000A
	ds_read_b32 v79, v10 offset:960                            // 000000009FEC: D86C03C0 4F00000A
	s_waitcnt lgkmcnt(0)                                       // 000000009FF4: BF8CC07F
	v_max3_f32 v50, v64, v65, v50                              // 000000009FF8: D1D30032 04CA8340
	v_max3_f32 v50, v66, v67, v50                              // 00000000A000: D1D30032 04CA8742
	v_max3_f32 v50, v68, v69, v50                              // 00000000A008: D1D30032 04CA8B44
	v_max3_f32 v50, v70, v71, v50                              // 00000000A010: D1D30032 04CA8F46
	v_max3_f32 v50, v72, v73, v50                              // 00000000A018: D1D30032 04CA9348
	v_max3_f32 v50, v74, v75, v50                              // 00000000A020: D1D30032 04CA974A
	v_max3_f32 v50, v76, v77, v50                              // 00000000A028: D1D30032 04CA9B4C
	v_max3_f32 v50, v78, v79, v50                              // 00000000A030: D1D30032 04CA9F4E
	v_cmp_eq_u32_e64 s[40:41], v55, v14                        // 00000000A038: D0CA0028 00021D37
	s_nop 1                                                    // 00000000A040: BF800001
	v_max_f32_e32 v16, v50, v14                                // 00000000A044: 16201D32
	v_sub_f32_e32 v51, v14, v16                                // 00000000A048: 0466210E
	v_cndmask_b32_e64 v51, v51, 0, s[40:41]                    // 00000000A04C: D1000033 00A10133
	v_mov_b32_e32 v14, v16                                     // 00000000A054: 7E1C0310
	v_mul_f32_e32 v53, s64, v16                                // 00000000A058: 0A6A2040
	v_mul_f32_e32 v51, s64, v51                                // 00000000A05C: 0A666640
	v_exp_f32_e32 v51, v51                                     // 00000000A060: 7E664133
	v_fma_f32 v112, v112, s64, -v53                            // 00000000A064: D1CB0070 84D48170
	v_fma_f32 v113, v113, s64, -v53                            // 00000000A06C: D1CB0071 84D48171
	v_fma_f32 v114, v114, s64, -v53                            // 00000000A074: D1CB0072 84D48172
	v_fma_f32 v115, v115, s64, -v53                            // 00000000A07C: D1CB0073 84D48173
	v_fma_f32 v116, v116, s64, -v53                            // 00000000A084: D1CB0074 84D48174
	v_fma_f32 v117, v117, s64, -v53                            // 00000000A08C: D1CB0075 84D48175
	v_fma_f32 v118, v118, s64, -v53                            // 00000000A094: D1CB0076 84D48176
	v_fma_f32 v119, v119, s64, -v53                            // 00000000A09C: D1CB0077 84D48177
	v_fma_f32 v120, v120, s64, -v53                            // 00000000A0A4: D1CB0078 84D48178
	v_fma_f32 v121, v121, s64, -v53                            // 00000000A0AC: D1CB0079 84D48179
	v_fma_f32 v122, v122, s64, -v53                            // 00000000A0B4: D1CB007A 84D4817A
	v_fma_f32 v123, v123, s64, -v53                            // 00000000A0BC: D1CB007B 84D4817B
	v_fma_f32 v124, v124, s64, -v53                            // 00000000A0C4: D1CB007C 84D4817C
	v_fma_f32 v125, v125, s64, -v53                            // 00000000A0CC: D1CB007D 84D4817D
	v_fma_f32 v126, v126, s64, -v53                            // 00000000A0D4: D1CB007E 84D4817E
	v_fma_f32 v127, v127, s64, -v53                            // 00000000A0DC: D1CB007F 84D4817F
	v_exp_f32_e32 v112, v112                                   // 00000000A0E4: 7EE04170
	v_exp_f32_e32 v113, v113                                   // 00000000A0E8: 7EE24171
	v_exp_f32_e32 v114, v114                                   // 00000000A0EC: 7EE44172
	v_exp_f32_e32 v115, v115                                   // 00000000A0F0: 7EE64173
	v_exp_f32_e32 v116, v116                                   // 00000000A0F4: 7EE84174
	v_exp_f32_e32 v117, v117                                   // 00000000A0F8: 7EEA4175
	v_exp_f32_e32 v118, v118                                   // 00000000A0FC: 7EEC4176
	v_exp_f32_e32 v119, v119                                   // 00000000A100: 7EEE4177
	v_exp_f32_e32 v120, v120                                   // 00000000A104: 7EF04178
	v_exp_f32_e32 v121, v121                                   // 00000000A108: 7EF24179
	v_exp_f32_e32 v122, v122                                   // 00000000A10C: 7EF4417A
	v_exp_f32_e32 v123, v123                                   // 00000000A110: 7EF6417B
	v_exp_f32_e32 v124, v124                                   // 00000000A114: 7EF8417C
	v_exp_f32_e32 v125, v125                                   // 00000000A118: 7EFA417D
	v_exp_f32_e32 v126, v126                                   // 00000000A11C: 7EFC417E
	v_exp_f32_e32 v127, v127                                   // 00000000A120: 7EFE417F
	v_mul_f32_e32 v43, v51, v43                                // 00000000A124: 0A565733
	v_mov_b32_e32 v45, v112                                    // 00000000A128: 7E5A0370
	v_add_f32_e32 v45, v113, v45                               // 00000000A12C: 025A5B71
	v_add_f32_e32 v45, v114, v45                               // 00000000A130: 025A5B72
	v_add_f32_e32 v45, v115, v45                               // 00000000A134: 025A5B73
	v_add_f32_e32 v45, v116, v45                               // 00000000A138: 025A5B74
	v_add_f32_e32 v45, v117, v45                               // 00000000A13C: 025A5B75
	v_add_f32_e32 v45, v118, v45                               // 00000000A140: 025A5B76
	v_add_f32_e32 v45, v119, v45                               // 00000000A144: 025A5B77
	v_add_f32_e32 v45, v120, v45                               // 00000000A148: 025A5B78
	v_add_f32_e32 v45, v121, v45                               // 00000000A14C: 025A5B79
	v_add_f32_e32 v45, v122, v45                               // 00000000A150: 025A5B7A
	v_add_f32_e32 v45, v123, v45                               // 00000000A154: 025A5B7B
	v_add_f32_e32 v45, v124, v45                               // 00000000A158: 025A5B7C
	v_add_f32_e32 v45, v125, v45                               // 00000000A15C: 025A5B7D
	v_add_f32_e32 v45, v126, v45                               // 00000000A160: 025A5B7E
	v_add_f32_e32 v45, v127, v45                               // 00000000A164: 025A5B7F
	v_add_f32_e32 v43, v45, v43                                // 00000000A168: 0256572D
	v_cmp_u_f32_e64 s[40:41], v112, v112                       // 00000000A16C: D0480028 0002E170
	v_add3_u32 v19, v112, v22, 1                               // 00000000A174: D1FF0013 02062D70
	v_cndmask_b32_e64 v39, v19, v21, s[40:41]                  // 00000000A17C: D1000027 00A22B13
	v_cmp_u_f32_e64 s[40:41], v113, v113                       // 00000000A184: D0480028 0002E371
	v_add3_u32 v19, v113, v22, 1                               // 00000000A18C: D1FF0013 02062D71
	v_cndmask_b32_e64 v40, v19, v21, s[40:41]                  // 00000000A194: D1000028 00A22B13
	v_perm_b32 v112, v40, v39, s52                             // 00000000A19C: D1ED0070 00D24F28
	v_cmp_u_f32_e64 s[40:41], v114, v114                       // 00000000A1A4: D0480028 0002E572
	v_add3_u32 v19, v114, v22, 1                               // 00000000A1AC: D1FF0013 02062D72
	v_cndmask_b32_e64 v39, v19, v21, s[40:41]                  // 00000000A1B4: D1000027 00A22B13
	v_cmp_u_f32_e64 s[40:41], v115, v115                       // 00000000A1BC: D0480028 0002E773
	v_add3_u32 v19, v115, v22, 1                               // 00000000A1C4: D1FF0013 02062D73
	v_cndmask_b32_e64 v40, v19, v21, s[40:41]                  // 00000000A1CC: D1000028 00A22B13
	v_perm_b32 v113, v40, v39, s52                             // 00000000A1D4: D1ED0071 00D24F28
	v_cmp_u_f32_e64 s[40:41], v116, v116                       // 00000000A1DC: D0480028 0002E974
	v_add3_u32 v19, v116, v22, 1                               // 00000000A1E4: D1FF0013 02062D74
	v_cndmask_b32_e64 v39, v19, v21, s[40:41]                  // 00000000A1EC: D1000027 00A22B13
	v_cmp_u_f32_e64 s[40:41], v117, v117                       // 00000000A1F4: D0480028 0002EB75
	v_add3_u32 v19, v117, v22, 1                               // 00000000A1FC: D1FF0013 02062D75
	v_cndmask_b32_e64 v40, v19, v21, s[40:41]                  // 00000000A204: D1000028 00A22B13
	v_perm_b32 v114, v40, v39, s52                             // 00000000A20C: D1ED0072 00D24F28
	v_cmp_u_f32_e64 s[40:41], v118, v118                       // 00000000A214: D0480028 0002ED76
	v_add3_u32 v19, v118, v22, 1                               // 00000000A21C: D1FF0013 02062D76
	v_cndmask_b32_e64 v39, v19, v21, s[40:41]                  // 00000000A224: D1000027 00A22B13
	v_cmp_u_f32_e64 s[40:41], v119, v119                       // 00000000A22C: D0480028 0002EF77
	v_add3_u32 v19, v119, v22, 1                               // 00000000A234: D1FF0013 02062D77
	v_cndmask_b32_e64 v40, v19, v21, s[40:41]                  // 00000000A23C: D1000028 00A22B13
	v_perm_b32 v115, v40, v39, s52                             // 00000000A244: D1ED0073 00D24F28
	v_cmp_u_f32_e64 s[40:41], v120, v120                       // 00000000A24C: D0480028 0002F178
	v_add3_u32 v19, v120, v22, 1                               // 00000000A254: D1FF0013 02062D78
	v_cndmask_b32_e64 v39, v19, v21, s[40:41]                  // 00000000A25C: D1000027 00A22B13
	v_cmp_u_f32_e64 s[40:41], v121, v121                       // 00000000A264: D0480028 0002F379
	v_add3_u32 v19, v121, v22, 1                               // 00000000A26C: D1FF0013 02062D79
	v_cndmask_b32_e64 v40, v19, v21, s[40:41]                  // 00000000A274: D1000028 00A22B13
	v_perm_b32 v116, v40, v39, s52                             // 00000000A27C: D1ED0074 00D24F28
	v_cmp_u_f32_e64 s[40:41], v122, v122                       // 00000000A284: D0480028 0002F57A
	v_add3_u32 v19, v122, v22, 1                               // 00000000A28C: D1FF0013 02062D7A
	v_cndmask_b32_e64 v39, v19, v21, s[40:41]                  // 00000000A294: D1000027 00A22B13
	v_cmp_u_f32_e64 s[40:41], v123, v123                       // 00000000A29C: D0480028 0002F77B
	v_add3_u32 v19, v123, v22, 1                               // 00000000A2A4: D1FF0013 02062D7B
	v_cndmask_b32_e64 v40, v19, v21, s[40:41]                  // 00000000A2AC: D1000028 00A22B13
	v_perm_b32 v117, v40, v39, s52                             // 00000000A2B4: D1ED0075 00D24F28
	v_cmp_u_f32_e64 s[40:41], v124, v124                       // 00000000A2BC: D0480028 0002F97C
	v_add3_u32 v19, v124, v22, 1                               // 00000000A2C4: D1FF0013 02062D7C
	v_cndmask_b32_e64 v39, v19, v21, s[40:41]                  // 00000000A2CC: D1000027 00A22B13
	v_cmp_u_f32_e64 s[40:41], v125, v125                       // 00000000A2D4: D0480028 0002FB7D
	v_add3_u32 v19, v125, v22, 1                               // 00000000A2DC: D1FF0013 02062D7D
	v_cndmask_b32_e64 v40, v19, v21, s[40:41]                  // 00000000A2E4: D1000028 00A22B13
	v_perm_b32 v118, v40, v39, s52                             // 00000000A2EC: D1ED0076 00D24F28
	v_cmp_u_f32_e64 s[40:41], v126, v126                       // 00000000A2F4: D0480028 0002FD7E
	v_add3_u32 v19, v126, v22, 1                               // 00000000A2FC: D1FF0013 02062D7E
	v_cndmask_b32_e64 v39, v19, v21, s[40:41]                  // 00000000A304: D1000027 00A22B13
	v_cmp_u_f32_e64 s[40:41], v127, v127                       // 00000000A30C: D0480028 0002FF7F
	v_add3_u32 v19, v127, v22, 1                               // 00000000A314: D1FF0013 02062D7F
	v_cndmask_b32_e64 v40, v19, v21, s[40:41]                  // 00000000A31C: D1000028 00A22B13
	v_perm_b32 v119, v40, v39, s52                             // 00000000A324: D1ED0077 00D24F28
	ds_write_b64 v13, v[112:113] offset:4096                   // 00000000A32C: D89A1000 0000700D
	ds_write_b64 v13, v[114:115] offset:6144                   // 00000000A334: D89A1800 0000720D
	ds_write_b64 v13, v[116:117] offset:8192                   // 00000000A33C: D89A2000 0000740D
	ds_write_b64 v13, v[118:119] offset:10240                  // 00000000A344: D89A2800 0000760D
	s_waitcnt lgkmcnt(0)                                       // 00000000A34C: BF8CC07F
	s_barrier                                                  // 00000000A350: BF8A0000
	ds_read_b64 v[112:113], v12 offset:4096                    // 00000000A354: D8EC1000 7000000C
	ds_read_b64 v[114:115], v12 offset:4224                    // 00000000A35C: D8EC1080 7200000C
	ds_read_b64 v[116:117], v12 offset:5120                    // 00000000A364: D8EC1400 7400000C
	ds_read_b64 v[118:119], v12 offset:5248                    // 00000000A36C: D8EC1480 7600000C
	ds_read_b64 v[120:121], v12 offset:6144                    // 00000000A374: D8EC1800 7800000C
	ds_read_b64 v[122:123], v12 offset:6272                    // 00000000A37C: D8EC1880 7A00000C
	ds_read_b64 v[124:125], v12 offset:7168                    // 00000000A384: D8EC1C00 7C00000C
	ds_read_b64 v[126:127], v12 offset:7296                    // 00000000A38C: D8EC1C80 7E00000C
	ds_read_b64 v[128:129], v12 offset:8192                    // 00000000A394: D8EC2000 8000000C
	ds_read_b64 v[130:131], v12 offset:8320                    // 00000000A39C: D8EC2080 8200000C
	ds_read_b64 v[132:133], v12 offset:9216                    // 00000000A3A4: D8EC2400 8400000C
	ds_read_b64 v[134:135], v12 offset:9344                    // 00000000A3AC: D8EC2480 8600000C
	ds_read_b64 v[136:137], v12 offset:10240                   // 00000000A3B4: D8EC2800 8800000C
	ds_read_b64 v[138:139], v12 offset:10368                   // 00000000A3BC: D8EC2880 8A00000C
	ds_read_b64 v[140:141], v12 offset:11264                   // 00000000A3C4: D8EC2C00 8C00000C
	ds_read_b64 v[142:143], v12 offset:11392                   // 00000000A3CC: D8EC2C80 8E00000C
	s_waitcnt lgkmcnt(0)                                       // 00000000A3D4: BF8CC07F
	v_mul_f32_e32 v176, v51, v176                              // 00000000A3D8: 0B616133
	v_mul_f32_e32 v177, v51, v177                              // 00000000A3DC: 0B636333
	v_mul_f32_e32 v178, v51, v178                              // 00000000A3E0: 0B656533
	v_mul_f32_e32 v179, v51, v179                              // 00000000A3E4: 0B676733
	v_mul_f32_e32 v180, v51, v180                              // 00000000A3E8: 0B696933
	v_mul_f32_e32 v181, v51, v181                              // 00000000A3EC: 0B6B6B33
	v_mul_f32_e32 v182, v51, v182                              // 00000000A3F0: 0B6D6D33
	v_mul_f32_e32 v183, v51, v183                              // 00000000A3F4: 0B6F6F33
	s_waitcnt vmcnt(0)                                         // 00000000A3F8: BF8C0F70
	s_barrier                                                  // 00000000A3FC: BF8A0000
	v_mfma_f32_16x16x16_bf16 v[176:179], a[192:193], v[112:113], v[176:179]// 00000000A400: D3E100B0 0EC2E1C0
	v_mfma_f32_16x16x16_bf16 v[176:179], a[194:195], v[114:115], v[176:179]// 00000000A408: D3E100B0 0EC2E5C2
	v_mfma_f32_16x16x16_bf16 v[176:179], a[196:197], v[116:117], v[176:179]// 00000000A410: D3E100B0 0EC2E9C4
	v_mfma_f32_16x16x16_bf16 v[176:179], a[198:199], v[118:119], v[176:179]// 00000000A418: D3E100B0 0EC2EDC6
	v_mfma_f32_16x16x16_bf16 v[176:179], a[200:201], v[120:121], v[176:179]// 00000000A420: D3E100B0 0EC2F1C8
	v_mfma_f32_16x16x16_bf16 v[176:179], a[202:203], v[122:123], v[176:179]// 00000000A428: D3E100B0 0EC2F5CA
	v_mfma_f32_16x16x16_bf16 v[176:179], a[204:205], v[124:125], v[176:179]// 00000000A430: D3E100B0 0EC2F9CC
	v_mfma_f32_16x16x16_bf16 v[176:179], a[206:207], v[126:127], v[176:179]// 00000000A438: D3E100B0 0EC2FDCE
	v_mfma_f32_16x16x16_bf16 v[176:179], a[208:209], v[128:129], v[176:179]// 00000000A440: D3E100B0 0EC301D0
	v_mfma_f32_16x16x16_bf16 v[176:179], a[210:211], v[130:131], v[176:179]// 00000000A448: D3E100B0 0EC305D2
	v_mfma_f32_16x16x16_bf16 v[176:179], a[212:213], v[132:133], v[176:179]// 00000000A450: D3E100B0 0EC309D4
	v_mfma_f32_16x16x16_bf16 v[176:179], a[214:215], v[134:135], v[176:179]// 00000000A458: D3E100B0 0EC30DD6
	v_mfma_f32_16x16x16_bf16 v[176:179], a[216:217], v[136:137], v[176:179]// 00000000A460: D3E100B0 0EC311D8
	v_mfma_f32_16x16x16_bf16 v[176:179], a[218:219], v[138:139], v[176:179]// 00000000A468: D3E100B0 0EC315DA
	v_mfma_f32_16x16x16_bf16 v[176:179], a[220:221], v[140:141], v[176:179]// 00000000A470: D3E100B0 0EC319DC
	v_mfma_f32_16x16x16_bf16 v[176:179], a[222:223], v[142:143], v[176:179]// 00000000A478: D3E100B0 0EC31DDE
	v_mfma_f32_16x16x16_bf16 v[180:183], a[224:225], v[112:113], v[180:183]// 00000000A480: D3E100B4 0ED2E1E0
	v_mfma_f32_16x16x16_bf16 v[180:183], a[226:227], v[114:115], v[180:183]// 00000000A488: D3E100B4 0ED2E5E2
	v_mfma_f32_16x16x16_bf16 v[180:183], a[228:229], v[116:117], v[180:183]// 00000000A490: D3E100B4 0ED2E9E4
	v_mfma_f32_16x16x16_bf16 v[180:183], a[230:231], v[118:119], v[180:183]// 00000000A498: D3E100B4 0ED2EDE6
	v_mfma_f32_16x16x16_bf16 v[180:183], a[232:233], v[120:121], v[180:183]// 00000000A4A0: D3E100B4 0ED2F1E8
	v_mfma_f32_16x16x16_bf16 v[180:183], a[234:235], v[122:123], v[180:183]// 00000000A4A8: D3E100B4 0ED2F5EA
	v_mfma_f32_16x16x16_bf16 v[180:183], a[236:237], v[124:125], v[180:183]// 00000000A4B0: D3E100B4 0ED2F9EC
	v_mfma_f32_16x16x16_bf16 v[180:183], a[238:239], v[126:127], v[180:183]// 00000000A4B8: D3E100B4 0ED2FDEE
	v_mfma_f32_16x16x16_bf16 v[180:183], a[240:241], v[128:129], v[180:183]// 00000000A4C0: D3E100B4 0ED301F0
	v_mfma_f32_16x16x16_bf16 v[180:183], a[242:243], v[130:131], v[180:183]// 00000000A4C8: D3E100B4 0ED305F2
	v_mfma_f32_16x16x16_bf16 v[180:183], a[244:245], v[132:133], v[180:183]// 00000000A4D0: D3E100B4 0ED309F4
	v_mfma_f32_16x16x16_bf16 v[180:183], a[246:247], v[134:135], v[180:183]// 00000000A4D8: D3E100B4 0ED30DF6
	v_mfma_f32_16x16x16_bf16 v[180:183], a[248:249], v[136:137], v[180:183]// 00000000A4E0: D3E100B4 0ED311F8
	v_mfma_f32_16x16x16_bf16 v[180:183], a[250:251], v[138:139], v[180:183]// 00000000A4E8: D3E100B4 0ED315FA
	v_mfma_f32_16x16x16_bf16 v[180:183], a[252:253], v[140:141], v[180:183]// 00000000A4F0: D3E100B4 0ED319FC
	v_mfma_f32_16x16x16_bf16 v[180:183], a[254:255], v[142:143], v[180:183]// 00000000A4F8: D3E100B4 0ED31DFE
	s_nop 8                                                    // 00000000A500: BF800008
	s_branch label_20C3                                        // 00000000A504: BF820000

000000000000a508 <label_20C3>:
	ds_write_b32 v11, v43                                      // 00000000A508: D81A0000 00002B0B
	s_waitcnt lgkmcnt(0)                                       // 00000000A510: BF8CC07F
	s_barrier                                                  // 00000000A514: BF8A0000
	ds_read_b32 v64, v10                                       // 00000000A518: D86C0000 4000000A
	ds_read_b32 v65, v10 offset:64                             // 00000000A520: D86C0040 4100000A
	ds_read_b32 v66, v10 offset:128                            // 00000000A528: D86C0080 4200000A
	ds_read_b32 v67, v10 offset:192                            // 00000000A530: D86C00C0 4300000A
	ds_read_b32 v68, v10 offset:256                            // 00000000A538: D86C0100 4400000A
	ds_read_b32 v69, v10 offset:320                            // 00000000A540: D86C0140 4500000A
	ds_read_b32 v70, v10 offset:384                            // 00000000A548: D86C0180 4600000A
	ds_read_b32 v71, v10 offset:448                            // 00000000A550: D86C01C0 4700000A
	ds_read_b32 v72, v10 offset:512                            // 00000000A558: D86C0200 4800000A
	ds_read_b32 v73, v10 offset:576                            // 00000000A560: D86C0240 4900000A
	ds_read_b32 v74, v10 offset:640                            // 00000000A568: D86C0280 4A00000A
	ds_read_b32 v75, v10 offset:704                            // 00000000A570: D86C02C0 4B00000A
	ds_read_b32 v76, v10 offset:768                            // 00000000A578: D86C0300 4C00000A
	ds_read_b32 v77, v10 offset:832                            // 00000000A580: D86C0340 4D00000A
	ds_read_b32 v78, v10 offset:896                            // 00000000A588: D86C0380 4E00000A
	ds_read_b32 v79, v10 offset:960                            // 00000000A590: D86C03C0 4F00000A
	s_waitcnt lgkmcnt(0)                                       // 00000000A598: BF8CC07F
	v_mov_b32_e32 v43, 0                                       // 00000000A59C: 7E560280
	v_add_f32_e32 v43, v64, v43                                // 00000000A5A0: 02565740
	v_add_f32_e32 v43, v65, v43                                // 00000000A5A4: 02565741
	v_add_f32_e32 v43, v66, v43                                // 00000000A5A8: 02565742
	v_add_f32_e32 v43, v67, v43                                // 00000000A5AC: 02565743
	v_add_f32_e32 v43, v68, v43                                // 00000000A5B0: 02565744
	v_add_f32_e32 v43, v69, v43                                // 00000000A5B4: 02565745
	v_add_f32_e32 v43, v70, v43                                // 00000000A5B8: 02565746
	v_add_f32_e32 v43, v71, v43                                // 00000000A5BC: 02565747
	v_add_f32_e32 v43, v72, v43                                // 00000000A5C0: 02565748
	v_add_f32_e32 v43, v73, v43                                // 00000000A5C4: 02565749
	v_add_f32_e32 v43, v74, v43                                // 00000000A5C8: 0256574A
	v_add_f32_e32 v43, v75, v43                                // 00000000A5CC: 0256574B
	v_add_f32_e32 v43, v76, v43                                // 00000000A5D0: 0256574C
	v_add_f32_e32 v43, v77, v43                                // 00000000A5D4: 0256574D
	v_add_f32_e32 v43, v78, v43                                // 00000000A5D8: 0256574E
	v_add_f32_e32 v43, v79, v43                                // 00000000A5DC: 0256574F
	s_nop 1                                                    // 00000000A5E0: BF800001
	v_rcp_f32_e32 v43, v43                                     // 00000000A5E4: 7E56452B
	s_nop 1                                                    // 00000000A5E8: BF800001
	v_mul_f32_e32 v176, v43, v176                              // 00000000A5EC: 0B61612B
	v_mul_f32_e32 v177, v43, v177                              // 00000000A5F0: 0B63632B
	v_mul_f32_e32 v178, v43, v178                              // 00000000A5F4: 0B65652B
	v_mul_f32_e32 v179, v43, v179                              // 00000000A5F8: 0B67672B
	v_mul_f32_e32 v180, v43, v180                              // 00000000A5FC: 0B69692B
	v_mul_f32_e32 v181, v43, v181                              // 00000000A600: 0B6B6B2B
	v_mul_f32_e32 v182, v43, v182                              // 00000000A604: 0B6D6D2B
	v_mul_f32_e32 v183, v43, v183                              // 00000000A608: 0B6F6F2B
	v_cmp_u_f32_e64 s[40:41], v176, v176                       // 00000000A60C: D0480028 000361B0
	v_add3_u32 v19, v176, v22, 1                               // 00000000A614: D1FF0013 02062DB0
	v_cndmask_b32_e64 v39, v19, v21, s[40:41]                  // 00000000A61C: D1000027 00A22B13
	v_cmp_u_f32_e64 s[40:41], v177, v177                       // 00000000A624: D0480028 000363B1
	v_add3_u32 v19, v177, v22, 1                               // 00000000A62C: D1FF0013 02062DB1
	v_cndmask_b32_e64 v40, v19, v21, s[40:41]                  // 00000000A634: D1000028 00A22B13
	v_perm_b32 v176, v40, v39, s52                             // 00000000A63C: D1ED00B0 00D24F28
	v_cmp_u_f32_e64 s[40:41], v178, v178                       // 00000000A644: D0480028 000365B2
	v_add3_u32 v19, v178, v22, 1                               // 00000000A64C: D1FF0013 02062DB2
	v_cndmask_b32_e64 v39, v19, v21, s[40:41]                  // 00000000A654: D1000027 00A22B13
	v_cmp_u_f32_e64 s[40:41], v179, v179                       // 00000000A65C: D0480028 000367B3
	v_add3_u32 v19, v179, v22, 1                               // 00000000A664: D1FF0013 02062DB3
	v_cndmask_b32_e64 v40, v19, v21, s[40:41]                  // 00000000A66C: D1000028 00A22B13
	v_perm_b32 v177, v40, v39, s52                             // 00000000A674: D1ED00B1 00D24F28
	v_cmp_u_f32_e64 s[40:41], v180, v180                       // 00000000A67C: D0480028 000369B4
	v_add3_u32 v19, v180, v22, 1                               // 00000000A684: D1FF0013 02062DB4
	v_cndmask_b32_e64 v39, v19, v21, s[40:41]                  // 00000000A68C: D1000027 00A22B13
	v_cmp_u_f32_e64 s[40:41], v181, v181                       // 00000000A694: D0480028 00036BB5
	v_add3_u32 v19, v181, v22, 1                               // 00000000A69C: D1FF0013 02062DB5
	v_cndmask_b32_e64 v40, v19, v21, s[40:41]                  // 00000000A6A4: D1000028 00A22B13
	v_perm_b32 v178, v40, v39, s52                             // 00000000A6AC: D1ED00B2 00D24F28
	v_cmp_u_f32_e64 s[40:41], v182, v182                       // 00000000A6B4: D0480028 00036DB6
	v_add3_u32 v19, v182, v22, 1                               // 00000000A6BC: D1FF0013 02062DB6
	v_cndmask_b32_e64 v39, v19, v21, s[40:41]                  // 00000000A6C4: D1000027 00A22B13
	v_cmp_u_f32_e64 s[40:41], v183, v183                       // 00000000A6CC: D0480028 00036FB7
	v_add3_u32 v19, v183, v22, 1                               // 00000000A6D4: D1FF0013 02062DB7
	v_cndmask_b32_e64 v40, v19, v21, s[40:41]                  // 00000000A6DC: D1000028 00A22B13
	v_perm_b32 v179, v40, v39, s52                             // 00000000A6E4: D1ED00B3 00D24F28
	v_lshrrev_b32_e32 v39, 4, v0                               // 00000000A6EC: 204E0084
	v_mul_i32_i24_e32 v5, 34, v39                              // 00000000A6F0: 0C0A4EA2
	v_and_b32_e32 v39, 15, v0                                  // 00000000A6F4: 264E008F
	v_mul_i32_i24_e32 v40, 2, v39                              // 00000000A6F8: 0C504E82
	v_add_u32_e32 v5, v40, v5                                  // 00000000A6FC: 680A0B28
	s_mul_i32 s60, s7, 0x88                                    // 00000000A700: 923CFF07 00000088
	v_add_u32_e32 v5, s60, v5                                  // 00000000A708: 680A0A3C
	v_lshlrev_b32_e32 v5, 2, v5                                // 00000000A70C: 240A0A82
	ds_write_b64 v5, v[176:177] offset:36864                   // 00000000A710: D89A9000 0000B005
	ds_write_b64 v5, v[178:179] offset:39040                   // 00000000A718: D89A9880 0000B205
	v_lshrrev_b32_e32 v39, 1, v0                               // 00000000A720: 204E0081
	v_mul_i32_i24_e32 v5, 34, v39                              // 00000000A724: 0C0A4EA2
	v_and_b32_e32 v40, 1, v0                                   // 00000000A728: 26500081
	v_add_u32_e32 v5, v40, v5                                  // 00000000A72C: 680A0B28
	s_mul_i32 s60, s7, 2                                       // 00000000A730: 923C8207
	v_add_u32_e32 v5, s60, v5                                  // 00000000A734: 680A0A3C
	v_lshlrev_b32_e32 v5, 2, v5                                // 00000000A738: 240A0A82
	s_waitcnt lgkmcnt(0)                                       // 00000000A73C: BF8CC07F
	s_barrier                                                  // 00000000A740: BF8A0000
	ds_read_b32 v176, v5 offset:36864                          // 00000000A744: D86C9000 B0000005
	ds_read_b32 v177, v5 offset:36896                          // 00000000A74C: D86C9020 B1000005
	ds_read_b32 v178, v5 offset:36928                          // 00000000A754: D86C9040 B2000005
	ds_read_b32 v179, v5 offset:36960                          // 00000000A75C: D86C9060 B3000005
	s_waitcnt lgkmcnt(0)                                       // 00000000A764: BF8CC07F
	buffer_store_dword v176, v8, s[8:11], 0 offen              // 00000000A768: E0701000 8002B008
	buffer_store_dword v177, v8, s[8:11], 0 offen offset:1024  // 00000000A770: E0701400 8002B108
	s_add_u32 s8, s75, s8                                      // 00000000A778: 8008084B
	s_addc_u32 s9, 0, s9                                       // 00000000A77C: 82090980
	buffer_store_dword v178, v8, s[8:11], 0 offen              // 00000000A780: E0701000 8002B208
	buffer_store_dword v179, v8, s[8:11], 0 offen offset:1024  // 00000000A788: E0701400 8002B308
	s_add_u32 s8, s75, s8                                      // 00000000A790: 8008084B
	s_addc_u32 s9, 0, s9                                       // 00000000A794: 82090980
	s_branch label_4371                                        // 00000000A798: BF822209

000000000000a79c <label_2168>:
	s_mov_b32 s88, 0xa0                                        // 00000000A79C: BED800FF 000000A0
	s_mul_i32 s60, s3, s65                                     // 00000000A7A4: 923C4103
	s_mul_i32 s60, s60, 4                                      // 00000000A7A8: 923C843C
	s_add_u32 s24, s60, s24                                    // 00000000A7AC: 8018183C
	s_addc_u32 s25, 0, s25                                     // 00000000A7B0: 82191980
	s_sub_u32 s89, s72, s86                                    // 00000000A7B4: 80D95648
	s_mov_b32 s90, 0xff                                        // 00000000A7B8: BEDA00FF 000000FF
	s_mov_b32 s91, 0x100                                       // 00000000A7C0: BEDB00FF 00000100
	s_mov_b32 s56, 64                                          // 00000000A7C8: BEB800C0
	s_waitcnt lgkmcnt(0)                                       // 00000000A7CC: BF8CC07F
	s_add_u32 s73, s72, 15                                     // 00000000A7D0: 80498F48
	s_lshr_b32 s73, s73, 4                                     // 00000000A7D4: 8F498449
	s_mul_i32 s60, s73, 4                                      // 00000000A7D8: 923C8449
	s_mov_b32 s26, s60                                         // 00000000A7DC: BE9A003C
	v_and_b32_e32 v40, 3, v0                                   // 00000000A7E0: 26500083
	v_cmp_eq_u32_e64 s[60:61], 0, v40                          // 00000000A7E4: D0CA003C 00025080
	v_and_b32_e32 v39, 12, v0                                  // 00000000A7EC: 264E008C
	v_add_u32_e32 v1, s7, v39                                  // 00000000A7F0: 68024E07
	v_cndmask_b32_e64 v1, 0, v1, s[60:61]                      // 00000000A7F4: D1000001 00F20280
	v_and_b32_e32 v40, 3, v0                                   // 00000000A7FC: 26500083
	v_cmp_eq_u32_e64 s[60:61], 0, v40                          // 00000000A800: D0CA003C 00025080
	v_lshrrev_b32_e32 v39, 5, v0                               // 00000000A808: 204E0085
	v_and_b32_e32 v40, 14, v0                                  // 00000000A80C: 2650008E
	v_add_u32_e32 v39, v40, v39                                // 00000000A810: 684E4F28
	v_cndmask_b32_e64 v39, v39, 0, s[60:61]                    // 00000000A814: D1000027 00F10127
	v_add_u32_e32 v1, v1, v39                                  // 00000000A81C: 68024F01
	v_lshlrev_b32_e32 v1, 2, v1                                // 00000000A820: 24020282
	v_writelane_b32 v1, 56, 7                                  // 00000000A824: D28A0001 00010EB8
	v_writelane_b32 v1, 56, 23                                 // 00000000A82C: D28A0001 00012EB8
	v_writelane_b32 v1, 60, 39                                 // 00000000A834: D28A0001 00014EBC
	v_writelane_b32 v1, 60, 55                                 // 00000000A83C: D28A0001 00016EBC
	buffer_load_dword v17, v1, s[24:27], 0 offen               // 00000000A844: E0501000 80061101
	v_add_u32_e32 v1, s56, v1                                  // 00000000A84C: 68020238
	buffer_load_dword v18, v1, s[24:27], 0 offen               // 00000000A850: E0501000 80061201
	s_cmp_le_u32 s73, 32                                       // 00000000A858: BF0BA049
	s_cselect_b32 s56, 0, s56                                  // 00000000A85C: 85383880
	s_mul_i32 s61, s2, s67                                     // 00000000A860: 923D4302
	s_mul_i32 s60, s84, s74                                    // 00000000A864: 923C4A54
	s_add_u32 s60, s60, s61                                    // 00000000A868: 803C3D3C
	s_add_u32 s12, s60, s12                                    // 00000000A86C: 800C0C3C
	s_addc_u32 s13, 0, s13                                     // 00000000A870: 820D0D80
	s_mul_i32 s60, s7, 0x420                                   // 00000000A874: 923CFF07 00000420
	s_add_u32 m0, 0, s60                                       // 00000000A87C: 807C3C80
	s_mul_i32 s60, s7, 0x100                                   // 00000000A880: 923CFF07 00000100
	v_lshlrev_b32_e32 v39, 2, v0                               // 00000000A888: 244E0082
	v_add_u32_e64 v39, v39, s60                                // 00000000A88C: D1340027 00007927
	v_add_u32_e32 v40, 0x400, v39                              // 00000000A894: 68504EFF 00000400
	buffer_load_dword v39, s[12:15], 0 offen lds               // 00000000A89C: E0511000 80030027
	s_add_u32 m0, m0, 0x100                                    // 00000000A8A4: 807CFF7C 00000100
	buffer_load_dword v40, s[12:15], 0 offen lds               // 00000000A8AC: E0511000 80030028
	s_add_u32 m0, m0, 0x100                                    // 00000000A8B4: 807CFF7C 00000100
	s_add_u32 s12, s74, s12                                    // 00000000A8BC: 800C0C4A
	s_addc_u32 s13, 0, s13                                     // 00000000A8C0: 820D0D80
	buffer_load_dword v39, s[12:15], 0 offen lds               // 00000000A8C4: E0511000 80030027
	s_add_u32 m0, m0, 0x100                                    // 00000000A8CC: 807CFF7C 00000100
	buffer_load_dword v40, s[12:15], 0 offen lds               // 00000000A8D4: E0511000 80030028
	s_mul_i32 s60, 4, 0x420                                    // 00000000A8DC: 923CFF84 00000420
	s_mul_i32 s61, s7, 0x420                                   // 00000000A8E4: 923DFF07 00000420
	s_add_u32 m0, s60, s61                                     // 00000000A8EC: 807C3D3C
	s_add_u32 s12, s74, s12                                    // 00000000A8F0: 800C0C4A
	s_addc_u32 s13, 0, s13                                     // 00000000A8F4: 820D0D80
	buffer_load_dword v39, s[12:15], 0 offen lds               // 00000000A8F8: E0511000 80030027
	s_add_u32 m0, m0, 0x100                                    // 00000000A900: 807CFF7C 00000100
	buffer_load_dword v40, s[12:15], 0 offen lds               // 00000000A908: E0511000 80030028
	s_add_u32 m0, m0, 0x100                                    // 00000000A910: 807CFF7C 00000100
	s_add_u32 s12, s74, s12                                    // 00000000A918: 800C0C4A
	s_addc_u32 s13, 0, s13                                     // 00000000A91C: 820D0D80
	s_branch label_2236                                        // 00000000A920: BF82006C

000000000000a924 <label_21CA>:
	s_mul_i32 s60, s3, s65                                     // 00000000A924: 923C4103
	s_mul_i32 s60, s60, 4                                      // 00000000A928: 923C843C
	s_add_u32 s24, s60, s24                                    // 00000000A92C: 8018183C
	s_addc_u32 s25, 0, s25                                     // 00000000A930: 82191980
	s_sub_u32 s89, s72, s86                                    // 00000000A934: 80D95648
	s_mov_b32 s90, 0xff                                        // 00000000A938: BEDA00FF 000000FF
	s_mov_b32 s91, 0x100                                       // 00000000A940: BEDB00FF 00000100
	s_mov_b32 s56, 64                                          // 00000000A948: BEB800C0
	s_waitcnt lgkmcnt(0)                                       // 00000000A94C: BF8CC07F
	s_add_u32 s73, s72, 15                                     // 00000000A950: 80498F48
	s_lshr_b32 s73, s73, 4                                     // 00000000A954: 8F498449
	s_mul_i32 s60, s73, 4                                      // 00000000A958: 923C8449
	s_mov_b32 s26, s60                                         // 00000000A95C: BE9A003C
	v_and_b32_e32 v40, 3, v0                                   // 00000000A960: 26500083
	v_cmp_eq_u32_e64 s[60:61], 0, v40                          // 00000000A964: D0CA003C 00025080
	v_and_b32_e32 v39, 12, v0                                  // 00000000A96C: 264E008C
	v_add_u32_e32 v1, s7, v39                                  // 00000000A970: 68024E07
	v_cndmask_b32_e64 v1, 0, v1, s[60:61]                      // 00000000A974: D1000001 00F20280
	v_and_b32_e32 v40, 3, v0                                   // 00000000A97C: 26500083
	v_cmp_eq_u32_e64 s[60:61], 0, v40                          // 00000000A980: D0CA003C 00025080
	v_lshrrev_b32_e32 v39, 5, v0                               // 00000000A988: 204E0085
	v_and_b32_e32 v40, 14, v0                                  // 00000000A98C: 2650008E
	v_add_u32_e32 v39, v40, v39                                // 00000000A990: 684E4F28
	v_cndmask_b32_e64 v39, v39, 0, s[60:61]                    // 00000000A994: D1000027 00F10127
	v_add_u32_e32 v1, v1, v39                                  // 00000000A99C: 68024F01
	v_lshlrev_b32_e32 v1, 2, v1                                // 00000000A9A0: 24020282
	v_writelane_b32 v1, 56, 7                                  // 00000000A9A4: D28A0001 00010EB8
	v_writelane_b32 v1, 56, 23                                 // 00000000A9AC: D28A0001 00012EB8
	v_writelane_b32 v1, 60, 39                                 // 00000000A9B4: D28A0001 00014EBC
	v_writelane_b32 v1, 60, 55                                 // 00000000A9BC: D28A0001 00016EBC
	buffer_load_dword v17, v1, s[24:27], 0 offen               // 00000000A9C4: E0501000 80061101
	v_add_u32_e32 v1, s56, v1                                  // 00000000A9CC: 68020238
	buffer_load_dword v18, v1, s[24:27], 0 offen               // 00000000A9D0: E0501000 80061201
	s_cmp_le_u32 s73, 32                                       // 00000000A9D8: BF0BA049
	s_cselect_b32 s56, 0, s56                                  // 00000000A9DC: 85383880
	s_mul_i32 s61, s2, s67                                     // 00000000A9E0: 923D4302
	s_mul_i32 s60, s84, s74                                    // 00000000A9E4: 923C4A54
	s_add_u32 s60, s60, s61                                    // 00000000A9E8: 803C3D3C
	s_add_u32 s12, s60, s12                                    // 00000000A9EC: 800C0C3C
	s_addc_u32 s13, 0, s13                                     // 00000000A9F0: 820D0D80
	s_mul_i32 s60, s7, 0x420                                   // 00000000A9F4: 923CFF07 00000420
	s_add_u32 m0, 0, s60                                       // 00000000A9FC: 807C3C80
	s_mul_i32 s60, s7, 0x100                                   // 00000000AA00: 923CFF07 00000100
	v_lshlrev_b32_e32 v39, 2, v0                               // 00000000AA08: 244E0082
	v_add_u32_e64 v39, v39, s60                                // 00000000AA0C: D1340027 00007927
	v_add_u32_e32 v40, 0x400, v39                              // 00000000AA14: 68504EFF 00000400
	buffer_load_dword v39, s[12:15], 0 offen lds               // 00000000AA1C: E0511000 80030027
	s_add_u32 m0, m0, 0x100                                    // 00000000AA24: 807CFF7C 00000100
	buffer_load_dword v40, s[12:15], 0 offen lds               // 00000000AA2C: E0511000 80030028
	s_add_u32 m0, m0, 0x100                                    // 00000000AA34: 807CFF7C 00000100
	s_add_u32 s12, s74, s12                                    // 00000000AA3C: 800C0C4A
	s_addc_u32 s13, 0, s13                                     // 00000000AA40: 820D0D80
	buffer_load_dword v39, s[12:15], 0 offen lds               // 00000000AA44: E0511000 80030027
	s_add_u32 m0, m0, 0x100                                    // 00000000AA4C: 807CFF7C 00000100
	buffer_load_dword v40, s[12:15], 0 offen lds               // 00000000AA54: E0511000 80030028
	s_mul_i32 s60, 4, 0x420                                    // 00000000AA5C: 923CFF84 00000420
	s_mul_i32 s61, s7, 0x420                                   // 00000000AA64: 923DFF07 00000420
	s_add_u32 m0, s60, s61                                     // 00000000AA6C: 807C3D3C
	s_add_u32 s12, s74, s12                                    // 00000000AA70: 800C0C4A
	s_addc_u32 s13, 0, s13                                     // 00000000AA74: 820D0D80
	buffer_load_dword v39, s[12:15], 0 offen lds               // 00000000AA78: E0511000 80030027
	s_add_u32 m0, m0, 0x100                                    // 00000000AA80: 807CFF7C 00000100
	buffer_load_dword v40, s[12:15], 0 offen lds               // 00000000AA88: E0511000 80030028
	s_add_u32 m0, m0, 0x100                                    // 00000000AA90: 807CFF7C 00000100
	s_add_u32 s12, s74, s12                                    // 00000000AA98: 800C0C4A
	s_addc_u32 s13, 0, s13                                     // 00000000AA9C: 820D0D80
	buffer_load_dword v39, s[12:15], 0 offen lds               // 00000000AAA0: E0511000 80030027
	s_add_u32 m0, m0, 0x100                                    // 00000000AAA8: 807CFF7C 00000100
	buffer_load_dword v40, s[12:15], 0 offen lds               // 00000000AAB0: E0511000 80030028
	s_mul_i32 s60, 4, 0x420                                    // 00000000AAB8: 923CFF84 00000420
	s_mul_i32 s61, s7, 0x420                                   // 00000000AAC0: 923DFF07 00000420
	s_add_u32 m0, s60, s61                                     // 00000000AAC8: 807C3D3C
	s_add_u32 s12, s74, s12                                    // 00000000AACC: 800C0C4A
	s_addc_u32 s13, 0, s13                                     // 00000000AAD0: 820D0D80

000000000000aad4 <label_2236>:
	s_mul_i32 s61, s2, s76                                     // 00000000AAD4: 923D4C02
	s_mul_i32 s60, s84, s75                                    // 00000000AAD8: 923C4B54
	s_add_u32 s60, s60, s61                                    // 00000000AADC: 803C3D3C
	s_add_u32 s8, s60, s8                                      // 00000000AAE0: 8008083C
	s_addc_u32 s9, 0, s9                                       // 00000000AAE4: 82090980
	s_mul_i32 s60, s7, 0x100                                   // 00000000AAE8: 923CFF07 00000100
	v_lshlrev_b32_e32 v8, 2, v0                                // 00000000AAF0: 24100082
	v_add_u32_e64 v8, v8, s60                                  // 00000000AAF4: D1340008 00007908
	s_mov_b32 s70, 0                                           // 00000000AAFC: BEC60080
	s_and_b32 s71, s72, 0xffffff00                             // 00000000AB00: 8647FF48 FFFFFF00
	v_mov_b32_e32 v54, s68                                     // 00000000AB08: 7E6C0244
	v_mov_b32_e32 v9, -1                                       // 00000000AB0C: 7E1202C1
	s_mov_b32 s52, 0x7060302                                   // 00000000AB10: BEB400FF 07060302
	s_mov_b32 s53, 0x400                                       // 00000000AB18: BEB500FF 00000400
	s_mov_b32 s54, 0x40100                                     // 00000000AB20: BEB600FF 00040100
	s_mov_b32 s55, 0x4020100                                   // 00000000AB28: BEB700FF 04020100
	v_mov_b32_dpp v9, v9 row_shl:8 row_mask:0xf bank_mask:0xf bound_ctrl:1// 00000000AB30: 7E1202FA FF090809
	s_mov_b32 s6, 0x3fb8aa3b                                   // 00000000AB38: BE8600FF 3FB8AA3B
	v_mov_b32_e32 v14, 0xff800000                              // 00000000AB40: 7E1C02FF FF800000
	v_mov_b32_e32 v15, 0xff800000                              // 00000000AB48: 7E1E02FF FF800000
	v_mov_b32_e32 v55, 0xff800000                              // 00000000AB50: 7E6E02FF FF800000
	v_mov_b32_e32 v51, 0                                       // 00000000AB58: 7E660280
	v_mov_b32_e32 v52, 0                                       // 00000000AB5C: 7E680280
	v_mov_b32_e32 v43, 0                                       // 00000000AB60: 7E560280
	v_mov_b32_e32 v44, 0                                       // 00000000AB64: 7E580280
	v_mov_b32_e32 v20, 0xffff0000                              // 00000000AB68: 7E2802FF FFFF0000
	v_mov_b32_e32 v21, 0x7fff0000                              // 00000000AB70: 7E2A02FF 7FFF0000
	v_mov_b32_e32 v22, 0x7fff                                  // 00000000AB78: 7E2C02FF 00007FFF
	v_add_u32_e32 v1, s56, v1                                  // 00000000AB80: 68020238
	v_and_b32_e32 v10, 15, v0                                  // 00000000AB84: 2614008F
	v_lshlrev_b32_e32 v10, 2, v10                              // 00000000AB88: 24141482
	v_lshlrev_b32_e32 v11, 2, v0                               // 00000000AB8C: 24160082
	s_mul_i32 s60, 0x100, s7                                   // 00000000AB90: 923C07FF 00000100
	v_add_u32_e32 v11, s60, v11                                // 00000000AB98: 6816163C
	v_lshrrev_b32_e32 v39, 4, v0                               // 00000000AB9C: 204E0084
	v_lshlrev_b32_e32 v40, 6, v39                              // 00000000ABA0: 24504E86
	v_and_b32_e32 v39, 15, v0                                  // 00000000ABA4: 264E008F
	v_lshlrev_b32_e32 v39, 1, v39                              // 00000000ABA8: 244E4E81
	v_add_u32_e32 v40, v39, v40                                // 00000000ABAC: 68505127
	v_lshlrev_b32_e32 v12, 2, v40                              // 00000000ABB0: 24185082
	v_lshlrev_b32_e32 v39, 3, v0                               // 00000000ABB4: 244E0083
	s_mul_i32 s60, 0x200, s7                                   // 00000000ABB8: 923C07FF 00000200
	v_add_u32_e64 v13, v39, s60                                // 00000000ABC0: D134000D 00007927
	v_lshlrev_b32_e32 v6, 4, v0                                // 00000000ABC8: 240C0084
	s_mul_i32 s60, s2, s69                                     // 00000000ABCC: 923C4502
	s_add_u32 s16, s60, s16                                    // 00000000ABD0: 8010103C
	s_addc_u32 s17, 0, s17                                     // 00000000ABD4: 82111180
	v_and_b32_e32 v39, 15, v0                                  // 00000000ABD8: 264E008F
	v_lshlrev_b32_e32 v7, 4, v39                               // 00000000ABDC: 240E4E84
	v_and_b32_e32 v39, 31, v0                                  // 00000000ABE0: 264E009F
	v_lshrrev_b32_e32 v39, 4, v39                              // 00000000ABE4: 204E4E84
	v_mul_i32_i24_e32 v39, 0x800, v39                          // 00000000ABE8: 0C4E4EFF 00000800
	v_add_u32_e32 v7, v39, v7                                  // 00000000ABF0: 680E0F27
	s_mul_i32 s61, s2, s69                                     // 00000000ABF4: 923D4502
	s_mul_i32 s60, s7, 0x100                                   // 00000000ABF8: 923CFF07 00000100
	s_add_u32 s60, s60, s61                                    // 00000000AC00: 803C3D3C
	s_add_u32 s20, s60, s20                                    // 00000000AC04: 8014143C
	s_addc_u32 s21, 0, s21                                     // 00000000AC08: 82151580
	s_waitcnt vmcnt(4)                                         // 00000000AC0C: BF8C0F74
	v_mul_u32_u24_dpp v39, v17, v54 row_newbcast:0 row_mask:0xf bank_mask:0xf// 00000000AC10: 104E6CFA FF015011
	v_mul_u32_u24_dpp v40, v17, v54 row_newbcast:4 row_mask:0xf bank_mask:0xf// 00000000AC18: 10506CFA FF015411
	v_mul_u32_u24_dpp v41, v17, v54 row_newbcast:8 row_mask:0xf bank_mask:0xf// 00000000AC20: 10526CFA FF015811
	v_mul_u32_u24_dpp v42, v17, v54 row_newbcast:12 row_mask:0xf bank_mask:0xf// 00000000AC28: 10546CFA FF015C11
	v_add_u32_e32 v23, v39, v6                                 // 00000000AC30: 682E0D27
	v_add_u32_e32 v24, v40, v6                                 // 00000000AC34: 68300D28
	v_add_u32_e32 v25, v41, v6                                 // 00000000AC38: 68320D29
	v_add_u32_e32 v26, v42, v6                                 // 00000000AC3C: 68340D2A
	v_mul_u32_u24_dpp v39, v17, v54 row_newbcast:1 row_mask:0xf bank_mask:0xf// 00000000AC40: 104E6CFA FF015111
	v_mul_u32_u24_dpp v40, v17, v54 row_newbcast:2 row_mask:0xf bank_mask:0xf// 00000000AC48: 10506CFA FF015211
	v_mul_u32_u24_dpp v41, v17, v54 row_newbcast:5 row_mask:0xf bank_mask:0xf// 00000000AC50: 10526CFA FF015511
	v_mul_u32_u24_dpp v42, v17, v54 row_newbcast:6 row_mask:0xf bank_mask:0xf// 00000000AC58: 10546CFA FF015611
	v_add_u32_e32 v192, v39, v7                                // 00000000AC60: 69800F27
	v_add_u32_e32 v193, v40, v7                                // 00000000AC64: 69820F28
	v_add_u32_e32 v194, v41, v7                                // 00000000AC68: 69840F29
	v_add_u32_e32 v195, v42, v7                                // 00000000AC6C: 69860F2A
	v_mul_u32_u24_dpp v39, v17, v54 row_newbcast:9 row_mask:0xf bank_mask:0xf// 00000000AC70: 104E6CFA FF015911
	v_mul_u32_u24_dpp v40, v17, v54 row_newbcast:10 row_mask:0xf bank_mask:0xf// 00000000AC78: 10506CFA FF015A11
	v_mul_u32_u24_dpp v41, v17, v54 row_newbcast:13 row_mask:0xf bank_mask:0xf// 00000000AC80: 10526CFA FF015D11
	v_mul_u32_u24_dpp v42, v17, v54 row_newbcast:7 row_mask:0xf bank_mask:0xf// 00000000AC88: 10546CFA FF015711
	v_add_u32_e32 v196, v39, v7                                // 00000000AC90: 69880F27
	v_add_u32_e32 v197, v40, v7                                // 00000000AC94: 698A0F28
	v_add_u32_e32 v198, v41, v7                                // 00000000AC98: 698C0F29
	v_add_u32_e32 v199, v42, v7                                // 00000000AC9C: 698E0F2A
	buffer_load_dwordx4 a[0:3], v23, s[16:19], 0 offen         // 00000000ACA0: E05C1000 80840017
	buffer_load_dwordx4 a[4:7], v23, s[16:19], 0 offen offset:1024// 00000000ACA8: E05C1400 80840417
	buffer_load_dwordx4 a[8:11], v23, s[16:19], 0 offen offset:2048// 00000000ACB0: E05C1800 80840817
	buffer_load_dwordx4 a[12:15], v23, s[16:19], 0 offen offset:3072// 00000000ACB8: E05C1C00 80840C17
	buffer_load_dwordx4 a[16:19], v24, s[16:19], 0 offen       // 00000000ACC0: E05C1000 80841018
	buffer_load_dwordx4 a[20:23], v24, s[16:19], 0 offen offset:1024// 00000000ACC8: E05C1400 80841418
	buffer_load_dwordx4 a[24:27], v24, s[16:19], 0 offen offset:2048// 00000000ACD0: E05C1800 80841818
	buffer_load_dwordx4 a[28:31], v24, s[16:19], 0 offen offset:3072// 00000000ACD8: E05C1C00 80841C18
	buffer_load_dwordx4 a[32:35], v25, s[16:19], 0 offen       // 00000000ACE0: E05C1000 80842019
	buffer_load_dwordx4 a[36:39], v25, s[16:19], 0 offen offset:1024// 00000000ACE8: E05C1400 80842419
	buffer_load_dwordx4 a[40:43], v25, s[16:19], 0 offen offset:2048// 00000000ACF0: E05C1800 80842819
	buffer_load_dwordx4 a[44:47], v25, s[16:19], 0 offen offset:3072// 00000000ACF8: E05C1C00 80842C19
	buffer_load_dwordx4 a[48:51], v26, s[16:19], 0 offen       // 00000000AD00: E05C1000 8084301A
	buffer_load_dwordx4 a[52:55], v26, s[16:19], 0 offen offset:1024// 00000000AD08: E05C1400 8084341A
	buffer_load_dwordx4 a[56:59], v26, s[16:19], 0 offen offset:2048// 00000000AD10: E05C1800 8084381A
	buffer_load_dwordx4 a[60:63], v26, s[16:19], 0 offen offset:3072// 00000000AD18: E05C1C00 80843C1A
	buffer_load_dwordx4 a[128:131], v192, s[20:23], 0 offen    // 00000000AD20: E05C1000 808580C0
	buffer_load_dwordx4 a[132:135], v193, s[20:23], 0 offen    // 00000000AD28: E05C1000 808584C1
	buffer_load_dwordx4 a[136:139], v194, s[20:23], 0 offen    // 00000000AD30: E05C1000 808588C2
	buffer_load_dwordx4 a[140:143], v195, s[20:23], 0 offen    // 00000000AD38: E05C1000 80858CC3
	buffer_load_dwordx4 a[144:147], v196, s[20:23], 0 offen    // 00000000AD40: E05C1000 808590C4
	buffer_load_dwordx4 a[148:151], v197, s[20:23], 0 offen    // 00000000AD48: E05C1000 808594C5
	buffer_load_dwordx4 a[152:155], v198, s[20:23], 0 offen    // 00000000AD50: E05C1000 808598C6
	buffer_load_dwordx4 a[156:159], v199, s[20:23], 0 offen    // 00000000AD58: E05C1000 80859CC7
	buffer_load_dwordx4 a[160:163], v192, s[20:23], 0 offen offset:1024// 00000000AD60: E05C1400 8085A0C0
	buffer_load_dwordx4 a[164:167], v193, s[20:23], 0 offen offset:1024// 00000000AD68: E05C1400 8085A4C1
	buffer_load_dwordx4 a[168:171], v194, s[20:23], 0 offen offset:1024// 00000000AD70: E05C1400 8085A8C2
	buffer_load_dwordx4 a[172:175], v195, s[20:23], 0 offen offset:1024// 00000000AD78: E05C1400 8085ACC3
	buffer_load_dwordx4 a[176:179], v196, s[20:23], 0 offen offset:1024// 00000000AD80: E05C1400 8085B0C4
	buffer_load_dwordx4 a[180:183], v197, s[20:23], 0 offen offset:1024// 00000000AD88: E05C1400 8085B4C5
	buffer_load_dwordx4 a[184:187], v198, s[20:23], 0 offen offset:1024// 00000000AD90: E05C1400 8085B8C6
	buffer_load_dwordx4 a[188:191], v199, s[20:23], 0 offen offset:1024// 00000000AD98: E05C1400 8085BCC7
	v_lshrrev_b32_e32 v39, 4, v0                               // 00000000ADA0: 204E0084
	v_lshlrev_b32_e32 v40, 2, v39                              // 00000000ADA4: 24504E82
	v_and_b32_e32 v39, 15, v0                                  // 00000000ADA8: 264E008F
	v_lshrrev_b32_e32 v41, 2, v39                              // 00000000ADAC: 20524E82
	v_lshlrev_b32_e32 v41, 6, v41                              // 00000000ADB0: 24525286
	v_add_u32_e32 v40, v41, v40                                // 00000000ADB4: 68505129
	v_and_b32_e32 v39, 3, v0                                   // 00000000ADB8: 264E0083
	v_mul_i32_i24_e32 v41, 0x108, v39                          // 00000000ADBC: 0C524EFF 00000108
	v_add_u32_e32 v40, v41, v40                                // 00000000ADC4: 68505129
	v_lshlrev_b32_e32 v4, 2, v40                               // 00000000ADC8: 24085082
	s_waitcnt vmcnt(32) lgkmcnt(0)                             // 00000000ADCC: BF8C8070
	s_barrier                                                  // 00000000ADD0: BF8A0000
	ds_read_b128 v[80:83], v4                                  // 00000000ADD4: D9FE0000 50000004
	ds_read_b128 v[84:87], v4 offset:64                        // 00000000ADDC: D9FE0040 54000004
	ds_read_b128 v[88:91], v4 offset:128                       // 00000000ADE4: D9FE0080 58000004
	ds_read_b128 v[92:95], v4 offset:192                       // 00000000ADEC: D9FE00C0 5C000004
	v_mov_b32_e32 v176, 0                                      // 00000000ADF4: 7F600280
	v_mov_b32_e32 v177, 0                                      // 00000000ADF8: 7F620280
	v_mov_b32_e32 v178, 0                                      // 00000000ADFC: 7F640280
	v_mov_b32_e32 v179, 0                                      // 00000000AE00: 7F660280
	v_mov_b32_e32 v180, 0                                      // 00000000AE04: 7F680280
	v_mov_b32_e32 v181, 0                                      // 00000000AE08: 7F6A0280
	v_mov_b32_e32 v182, 0                                      // 00000000AE0C: 7F6C0280
	v_mov_b32_e32 v183, 0                                      // 00000000AE10: 7F6E0280
	ds_read_b128 v[96:99], v4 offset:4224                      // 00000000AE14: D9FE1080 60000004
	ds_read_b128 v[100:103], v4 offset:4288                    // 00000000AE1C: D9FE10C0 64000004
	ds_read_b128 v[104:107], v4 offset:4352                    // 00000000AE24: D9FE1100 68000004
	ds_read_b128 v[108:111], v4 offset:4416                    // 00000000AE2C: D9FE1140 6C000004
	v_mov_b32_e32 v184, 0                                      // 00000000AE34: 7F700280
	v_mov_b32_e32 v185, 0                                      // 00000000AE38: 7F720280
	v_mov_b32_e32 v186, 0                                      // 00000000AE3C: 7F740280
	v_mov_b32_e32 v187, 0                                      // 00000000AE40: 7F760280
	v_mov_b32_e32 v188, 0                                      // 00000000AE44: 7F780280
	v_mov_b32_e32 v189, 0                                      // 00000000AE48: 7F7A0280
	v_mov_b32_e32 v190, 0                                      // 00000000AE4C: 7F7C0280
	v_mov_b32_e32 v191, 0                                      // 00000000AE50: 7F7E0280
	s_waitcnt vmcnt(16) lgkmcnt(0)                             // 00000000AE54: BF8C4070
	s_barrier                                                  // 00000000AE58: BF8A0000
	v_mul_u32_u24_dpp v39, v18, v54 row_newbcast:0 row_mask:0xf bank_mask:0xf// 00000000AE5C: 104E6CFA FF015012
	v_mul_u32_u24_dpp v40, v18, v54 row_newbcast:4 row_mask:0xf bank_mask:0xf// 00000000AE64: 10506CFA FF015412
	v_mul_u32_u24_dpp v41, v18, v54 row_newbcast:8 row_mask:0xf bank_mask:0xf// 00000000AE6C: 10526CFA FF015812
	v_mul_u32_u24_dpp v42, v18, v54 row_newbcast:12 row_mask:0xf bank_mask:0xf// 00000000AE74: 10546CFA FF015C12
	v_add_u32_e32 v27, v39, v6                                 // 00000000AE7C: 68360D27
	v_add_u32_e32 v28, v40, v6                                 // 00000000AE80: 68380D28
	v_add_u32_e32 v29, v41, v6                                 // 00000000AE84: 683A0D29
	v_add_u32_e32 v30, v42, v6                                 // 00000000AE88: 683C0D2A
	v_mul_u32_u24_dpp v39, v18, v54 row_newbcast:1 row_mask:0xf bank_mask:0xf// 00000000AE8C: 104E6CFA FF015112
	v_mul_u32_u24_dpp v40, v18, v54 row_newbcast:2 row_mask:0xf bank_mask:0xf// 00000000AE94: 10506CFA FF015212
	v_mul_u32_u24_dpp v41, v18, v54 row_newbcast:5 row_mask:0xf bank_mask:0xf// 00000000AE9C: 10526CFA FF015512
	v_mul_u32_u24_dpp v42, v18, v54 row_newbcast:6 row_mask:0xf bank_mask:0xf// 00000000AEA4: 10546CFA FF015612
	v_add_u32_e32 v200, v39, v7                                // 00000000AEAC: 69900F27
	v_add_u32_e32 v201, v40, v7                                // 00000000AEB0: 69920F28
	v_add_u32_e32 v202, v41, v7                                // 00000000AEB4: 69940F29
	v_add_u32_e32 v203, v42, v7                                // 00000000AEB8: 69960F2A
	v_mul_u32_u24_dpp v39, v18, v54 row_newbcast:9 row_mask:0xf bank_mask:0xf// 00000000AEBC: 104E6CFA FF015912
	v_mul_u32_u24_dpp v40, v18, v54 row_newbcast:10 row_mask:0xf bank_mask:0xf// 00000000AEC4: 10506CFA FF015A12
	v_mul_u32_u24_dpp v41, v18, v54 row_newbcast:13 row_mask:0xf bank_mask:0xf// 00000000AECC: 10526CFA FF015D12
	v_mul_u32_u24_dpp v42, v18, v54 row_newbcast:7 row_mask:0xf bank_mask:0xf// 00000000AED4: 10546CFA FF015712
	v_add_u32_e32 v204, v39, v7                                // 00000000AEDC: 69980F27
	v_add_u32_e32 v205, v40, v7                                // 00000000AEE0: 699A0F28
	v_add_u32_e32 v206, v41, v7                                // 00000000AEE4: 699C0F29
	v_add_u32_e32 v207, v42, v7                                // 00000000AEE8: 699E0F2A
	s_cmp_lt_u32 s73, 16                                       // 00000000AEEC: BF0A9049
	s_cbranch_scc1 label_3674                                  // 00000000AEF0: BF851336
	s_cmp_lt_i32 s7, 2                                         // 00000000AEF4: BF048207
	s_cbranch_scc0 label_2CDA                                  // 00000000AEF8: BF84099A

000000000000aefc <label_2340>:
	s_waitcnt vmcnt(16) lgkmcnt(0)                             // 00000000AEFC: BF8C4070
	v_mfma_f32_16x16x16_bf16 v[112:115], a[0:1], v[80:81], 0   // 00000000AF00: D3E10070 0A02A100
	v_mfma_f32_16x16x16_bf16 v[112:115], a[2:3], v[82:83], v[112:115]// 00000000AF08: D3E10070 0DC2A502
	buffer_load_dwordx4 a[64:67], v27, s[16:19], 0 offen       // 00000000AF10: E05C1000 8084401B
	v_mfma_f32_16x16x16_bf16 v[112:115], a[4:5], v[84:85], v[112:115]// 00000000AF18: D3E10070 0DC2A904
	v_mfma_f32_16x16x16_bf16 v[112:115], a[6:7], v[86:87], v[112:115]// 00000000AF20: D3E10070 0DC2AD06
	buffer_load_dword v17, v1, s[24:27], 0 offen               // 00000000AF28: E0501000 80061101
	v_mfma_f32_16x16x16_bf16 v[112:115], a[8:9], v[88:89], v[112:115]// 00000000AF30: D3E10070 0DC2B108
	v_mfma_f32_16x16x16_bf16 v[112:115], a[10:11], v[90:91], v[112:115]// 00000000AF38: D3E10070 0DC2B50A
	buffer_load_dwordx4 a[68:71], v27, s[16:19], 0 offen offset:1024// 00000000AF40: E05C1400 8084441B
	v_mfma_f32_16x16x16_bf16 v[112:115], a[12:13], v[92:93], v[112:115]// 00000000AF48: D3E10070 0DC2B90C
	v_mfma_f32_16x16x16_bf16 v[112:115], a[14:15], v[94:95], v[112:115]// 00000000AF50: D3E10070 0DC2BD0E
	v_mfma_f32_16x16x16_bf16 v[116:119], a[16:17], v[80:81], 0 // 00000000AF58: D3E10074 0A02A110
	v_mfma_f32_16x16x16_bf16 v[116:119], a[18:19], v[82:83], v[116:119]// 00000000AF60: D3E10074 0DD2A512
	buffer_load_dwordx4 a[72:75], v27, s[16:19], 0 offen offset:2048// 00000000AF68: E05C1800 8084481B
	v_mfma_f32_16x16x16_bf16 v[116:119], a[20:21], v[84:85], v[116:119]// 00000000AF70: D3E10074 0DD2A914
	v_mfma_f32_16x16x16_bf16 v[116:119], a[22:23], v[86:87], v[116:119]// 00000000AF78: D3E10074 0DD2AD16
	v_mfma_f32_16x16x16_bf16 v[116:119], a[24:25], v[88:89], v[116:119]// 00000000AF80: D3E10074 0DD2B118
	v_mfma_f32_16x16x16_bf16 v[116:119], a[26:27], v[90:91], v[116:119]// 00000000AF88: D3E10074 0DD2B51A
	buffer_load_dwordx4 a[76:79], v27, s[16:19], 0 offen offset:3072// 00000000AF90: E05C1C00 80844C1B
	v_mfma_f32_16x16x16_bf16 v[116:119], a[28:29], v[92:93], v[116:119]// 00000000AF98: D3E10074 0DD2B91C
	v_mfma_f32_16x16x16_bf16 v[116:119], a[30:31], v[94:95], v[116:119]// 00000000AFA0: D3E10074 0DD2BD1E
	v_mfma_f32_16x16x16_bf16 v[120:123], a[32:33], v[80:81], 0 // 00000000AFA8: D3E10078 0A02A120
	v_mfma_f32_16x16x16_bf16 v[120:123], a[34:35], v[82:83], v[120:123]// 00000000AFB0: D3E10078 0DE2A522
	buffer_load_dwordx4 a[80:83], v28, s[16:19], 0 offen       // 00000000AFB8: E05C1000 8084501C
	v_mfma_f32_16x16x16_bf16 v[120:123], a[36:37], v[84:85], v[120:123]// 00000000AFC0: D3E10078 0DE2A924
	v_mfma_f32_16x16x16_bf16 v[120:123], a[38:39], v[86:87], v[120:123]// 00000000AFC8: D3E10078 0DE2AD26
	v_mfma_f32_16x16x16_bf16 v[120:123], a[40:41], v[88:89], v[120:123]// 00000000AFD0: D3E10078 0DE2B128
	v_mfma_f32_16x16x16_bf16 v[120:123], a[42:43], v[90:91], v[120:123]// 00000000AFD8: D3E10078 0DE2B52A
	buffer_load_dwordx4 a[84:87], v28, s[16:19], 0 offen offset:1024// 00000000AFE0: E05C1400 8084541C
	v_mfma_f32_16x16x16_bf16 v[120:123], a[44:45], v[92:93], v[120:123]// 00000000AFE8: D3E10078 0DE2B92C
	v_mfma_f32_16x16x16_bf16 v[120:123], a[46:47], v[94:95], v[120:123]// 00000000AFF0: D3E10078 0DE2BD2E
	v_mfma_f32_16x16x16_bf16 v[124:127], a[48:49], v[80:81], 0 // 00000000AFF8: D3E1007C 0A02A130
	v_mfma_f32_16x16x16_bf16 v[124:127], a[50:51], v[82:83], v[124:127]// 00000000B000: D3E1007C 0DF2A532
	buffer_load_dwordx4 a[88:91], v28, s[16:19], 0 offen offset:2048// 00000000B008: E05C1800 8084581C
	v_mfma_f32_16x16x16_bf16 v[124:127], a[52:53], v[84:85], v[124:127]// 00000000B010: D3E1007C 0DF2A934
	v_mfma_f32_16x16x16_bf16 v[124:127], a[54:55], v[86:87], v[124:127]// 00000000B018: D3E1007C 0DF2AD36
	v_mfma_f32_16x16x16_bf16 v[124:127], a[56:57], v[88:89], v[124:127]// 00000000B020: D3E1007C 0DF2B138
	v_mfma_f32_16x16x16_bf16 v[124:127], a[58:59], v[90:91], v[124:127]// 00000000B028: D3E1007C 0DF2B53A
	buffer_load_dwordx4 a[92:95], v28, s[16:19], 0 offen offset:3072// 00000000B030: E05C1C00 80845C1C
	v_mfma_f32_16x16x16_bf16 v[124:127], a[60:61], v[92:93], v[124:127]// 00000000B038: D3E1007C 0DF2B93C
	v_mfma_f32_16x16x16_bf16 v[124:127], a[62:63], v[94:95], v[124:127]// 00000000B040: D3E1007C 0DF2BD3E
	s_cmp_le_i32 s90, s89                                      // 00000000B048: BF05595A
	s_cbranch_scc1 label_2408                                  // 00000000B04C: BF850073
	v_mov_b32_e32 v55, 0xff800000                              // 00000000B050: 7E6E02FF FF800000
	s_mov_b32 s60, s90                                         // 00000000B058: BEBC005A
	s_add_u32 s61, s89, 0xff                                   // 00000000B05C: 803DFF59 000000FF
	v_mov_b32_e32 v39, s61                                     // 00000000B064: 7E4E023D
	v_lshrrev_b32_e32 v31, 4, v0                               // 00000000B068: 203E0084
	v_mul_i32_i24_e32 v31, 4, v31                              // 00000000B06C: 0C3E3E84
	v_add_u32_e32 v31, s60, v31                                // 00000000B070: 683E3E3C
	v_and_b32_e32 v40, 15, v0                                  // 00000000B074: 2650008F
	v_lshrrev_b32_e32 v40, 3, v40                              // 00000000B078: 20505083
	s_mov_b32 s61, 0                                           // 00000000B07C: BEBD0080
	s_mul_i32 s60, 16, s7                                      // 00000000B080: 923C0790
	v_add_u32_e32 v40, s61, v40                                // 00000000B084: 6850503D
	v_sub_u32_e32 v31, v31, v40                                // 00000000B088: 6A3E511F
	v_add_u32_e32 v31, s60, v31                                // 00000000B08C: 683E3E3C
	v_add_u32_e32 v32, 1, v31                                  // 00000000B090: 68403E81
	v_add_u32_e32 v33, 2, v31                                  // 00000000B094: 68423E82
	v_add_u32_e32 v34, 3, v31                                  // 00000000B098: 68443E83
	v_cmp_le_u32_e64 s[40:41], v31, v39                        // 00000000B09C: D0CB0028 00024F1F
	v_add_u32_e32 v31, 64, v31                                 // 00000000B0A4: 683E3EC0
	s_nop 0                                                    // 00000000B0A8: BF800000
	v_cndmask_b32_e64 v112, v55, v112, s[40:41]                // 00000000B0AC: D1000070 00A2E137
	v_cmp_le_u32_e64 s[40:41], v32, v39                        // 00000000B0B4: D0CB0028 00024F20
	v_add_u32_e32 v32, 64, v32                                 // 00000000B0BC: 684040C0
	s_nop 0                                                    // 00000000B0C0: BF800000
	v_cndmask_b32_e64 v113, v55, v113, s[40:41]                // 00000000B0C4: D1000071 00A2E337
	v_cmp_le_u32_e64 s[40:41], v33, v39                        // 00000000B0CC: D0CB0028 00024F21
	v_add_u32_e32 v33, 64, v33                                 // 00000000B0D4: 684242C0
	s_nop 0                                                    // 00000000B0D8: BF800000
	v_cndmask_b32_e64 v114, v55, v114, s[40:41]                // 00000000B0DC: D1000072 00A2E537
	v_cmp_le_u32_e64 s[40:41], v34, v39                        // 00000000B0E4: D0CB0028 00024F22
	v_add_u32_e32 v34, 64, v34                                 // 00000000B0EC: 684444C0
	s_nop 0                                                    // 00000000B0F0: BF800000
	v_cndmask_b32_e64 v115, v55, v115, s[40:41]                // 00000000B0F4: D1000073 00A2E737
	v_cmp_le_u32_e64 s[40:41], v31, v39                        // 00000000B0FC: D0CB0028 00024F1F
	v_add_u32_e32 v31, 64, v31                                 // 00000000B104: 683E3EC0
	s_nop 0                                                    // 00000000B108: BF800000
	v_cndmask_b32_e64 v116, v55, v116, s[40:41]                // 00000000B10C: D1000074 00A2E937
	v_cmp_le_u32_e64 s[40:41], v32, v39                        // 00000000B114: D0CB0028 00024F20
	v_add_u32_e32 v32, 64, v32                                 // 00000000B11C: 684040C0
	s_nop 0                                                    // 00000000B120: BF800000
	v_cndmask_b32_e64 v117, v55, v117, s[40:41]                // 00000000B124: D1000075 00A2EB37
	v_cmp_le_u32_e64 s[40:41], v33, v39                        // 00000000B12C: D0CB0028 00024F21
	v_add_u32_e32 v33, 64, v33                                 // 00000000B134: 684242C0
	s_nop 0                                                    // 00000000B138: BF800000
	v_cndmask_b32_e64 v118, v55, v118, s[40:41]                // 00000000B13C: D1000076 00A2ED37
	v_cmp_le_u32_e64 s[40:41], v34, v39                        // 00000000B144: D0CB0028 00024F22
	v_add_u32_e32 v34, 64, v34                                 // 00000000B14C: 684444C0
	s_nop 0                                                    // 00000000B150: BF800000
	v_cndmask_b32_e64 v119, v55, v119, s[40:41]                // 00000000B154: D1000077 00A2EF37
	v_cmp_le_u32_e64 s[40:41], v31, v39                        // 00000000B15C: D0CB0028 00024F1F
	v_add_u32_e32 v31, 64, v31                                 // 00000000B164: 683E3EC0
	s_nop 0                                                    // 00000000B168: BF800000
	v_cndmask_b32_e64 v120, v55, v120, s[40:41]                // 00000000B16C: D1000078 00A2F137
	v_cmp_le_u32_e64 s[40:41], v32, v39                        // 00000000B174: D0CB0028 00024F20
	v_add_u32_e32 v32, 64, v32                                 // 00000000B17C: 684040C0
	s_nop 0                                                    // 00000000B180: BF800000
	v_cndmask_b32_e64 v121, v55, v121, s[40:41]                // 00000000B184: D1000079 00A2F337
	v_cmp_le_u32_e64 s[40:41], v33, v39                        // 00000000B18C: D0CB0028 00024F21
	v_add_u32_e32 v33, 64, v33                                 // 00000000B194: 684242C0
	s_nop 0                                                    // 00000000B198: BF800000
	v_cndmask_b32_e64 v122, v55, v122, s[40:41]                // 00000000B19C: D100007A 00A2F537
	v_cmp_le_u32_e64 s[40:41], v34, v39                        // 00000000B1A4: D0CB0028 00024F22
	v_add_u32_e32 v34, 64, v34                                 // 00000000B1AC: 684444C0
	s_nop 0                                                    // 00000000B1B0: BF800000
	v_cndmask_b32_e64 v123, v55, v123, s[40:41]                // 00000000B1B4: D100007B 00A2F737
	v_cmp_le_u32_e64 s[40:41], v31, v39                        // 00000000B1BC: D0CB0028 00024F1F
	v_add_u32_e32 v31, 64, v31                                 // 00000000B1C4: 683E3EC0
	s_nop 0                                                    // 00000000B1C8: BF800000
	v_cndmask_b32_e64 v124, v55, v124, s[40:41]                // 00000000B1CC: D100007C 00A2F937
	v_cmp_le_u32_e64 s[40:41], v32, v39                        // 00000000B1D4: D0CB0028 00024F20
	v_add_u32_e32 v32, 64, v32                                 // 00000000B1DC: 684040C0
	s_nop 0                                                    // 00000000B1E0: BF800000
	v_cndmask_b32_e64 v125, v55, v125, s[40:41]                // 00000000B1E4: D100007D 00A2FB37
	v_cmp_le_u32_e64 s[40:41], v33, v39                        // 00000000B1EC: D0CB0028 00024F21
	v_add_u32_e32 v33, 64, v33                                 // 00000000B1F4: 684242C0
	s_nop 0                                                    // 00000000B1F8: BF800000
	v_cndmask_b32_e64 v126, v55, v126, s[40:41]                // 00000000B1FC: D100007E 00A2FD37
	v_cmp_le_u32_e64 s[40:41], v34, v39                        // 00000000B204: D0CB0028 00024F22
	v_add_u32_e32 v34, 64, v34                                 // 00000000B20C: 684444C0
	s_nop 0                                                    // 00000000B210: BF800000
	v_cndmask_b32_e64 v127, v55, v127, s[40:41]                // 00000000B214: D100007F 00A2FF37

000000000000b21c <label_2408>:
	s_waitcnt vmcnt(16) lgkmcnt(0)                             // 00000000B21C: BF8C4070
	v_mfma_f32_16x16x16_bf16 v[144:147], a[0:1], v[96:97], 0   // 00000000B220: D3E10090 0A02C100
	v_mfma_f32_16x16x16_bf16 v[144:147], a[2:3], v[98:99], v[144:147]// 00000000B228: D3E10090 0E42C502
	v_mfma_f32_16x16x16_bf16 v[144:147], a[4:5], v[100:101], v[144:147]// 00000000B230: D3E10090 0E42C904
	v_mfma_f32_16x16x16_bf16 v[144:147], a[6:7], v[102:103], v[144:147]// 00000000B238: D3E10090 0E42CD06
	v_mfma_f32_16x16x16_bf16 v[144:147], a[8:9], v[104:105], v[144:147]// 00000000B240: D3E10090 0E42D108
	v_mfma_f32_16x16x16_bf16 v[144:147], a[10:11], v[106:107], v[144:147]// 00000000B248: D3E10090 0E42D50A
	v_mfma_f32_16x16x16_bf16 v[144:147], a[12:13], v[108:109], v[144:147]// 00000000B250: D3E10090 0E42D90C
	v_mfma_f32_16x16x16_bf16 v[144:147], a[14:15], v[110:111], v[144:147]// 00000000B258: D3E10090 0E42DD0E
	v_mfma_f32_16x16x16_bf16 v[148:151], a[16:17], v[96:97], 0 // 00000000B260: D3E10094 0A02C110
	v_mfma_f32_16x16x16_bf16 v[148:151], a[18:19], v[98:99], v[148:151]// 00000000B268: D3E10094 0E52C512
	v_mfma_f32_16x16x16_bf16 v[148:151], a[20:21], v[100:101], v[148:151]// 00000000B270: D3E10094 0E52C914
	v_mfma_f32_16x16x16_bf16 v[148:151], a[22:23], v[102:103], v[148:151]// 00000000B278: D3E10094 0E52CD16
	v_mfma_f32_16x16x16_bf16 v[148:151], a[24:25], v[104:105], v[148:151]// 00000000B280: D3E10094 0E52D118
	v_mfma_f32_16x16x16_bf16 v[148:151], a[26:27], v[106:107], v[148:151]// 00000000B288: D3E10094 0E52D51A
	v_mfma_f32_16x16x16_bf16 v[148:151], a[28:29], v[108:109], v[148:151]// 00000000B290: D3E10094 0E52D91C
	v_mfma_f32_16x16x16_bf16 v[148:151], a[30:31], v[110:111], v[148:151]// 00000000B298: D3E10094 0E52DD1E
	v_mfma_f32_16x16x16_bf16 v[152:155], a[32:33], v[96:97], 0 // 00000000B2A0: D3E10098 0A02C120
	v_mfma_f32_16x16x16_bf16 v[152:155], a[34:35], v[98:99], v[152:155]// 00000000B2A8: D3E10098 0E62C522
	v_mfma_f32_16x16x16_bf16 v[152:155], a[36:37], v[100:101], v[152:155]// 00000000B2B0: D3E10098 0E62C924
	v_mfma_f32_16x16x16_bf16 v[152:155], a[38:39], v[102:103], v[152:155]// 00000000B2B8: D3E10098 0E62CD26
	v_mfma_f32_16x16x16_bf16 v[152:155], a[40:41], v[104:105], v[152:155]// 00000000B2C0: D3E10098 0E62D128
	v_mfma_f32_16x16x16_bf16 v[152:155], a[42:43], v[106:107], v[152:155]// 00000000B2C8: D3E10098 0E62D52A
	v_mfma_f32_16x16x16_bf16 v[152:155], a[44:45], v[108:109], v[152:155]// 00000000B2D0: D3E10098 0E62D92C
	v_mfma_f32_16x16x16_bf16 v[152:155], a[46:47], v[110:111], v[152:155]// 00000000B2D8: D3E10098 0E62DD2E
	v_mfma_f32_16x16x16_bf16 v[156:159], a[48:49], v[96:97], 0 // 00000000B2E0: D3E1009C 0A02C130
	v_mfma_f32_16x16x16_bf16 v[156:159], a[50:51], v[98:99], v[156:159]// 00000000B2E8: D3E1009C 0E72C532
	v_mfma_f32_16x16x16_bf16 v[156:159], a[52:53], v[100:101], v[156:159]// 00000000B2F0: D3E1009C 0E72C934
	v_mfma_f32_16x16x16_bf16 v[156:159], a[54:55], v[102:103], v[156:159]// 00000000B2F8: D3E1009C 0E72CD36
	v_mfma_f32_16x16x16_bf16 v[156:159], a[56:57], v[104:105], v[156:159]// 00000000B300: D3E1009C 0E72D138
	v_mfma_f32_16x16x16_bf16 v[156:159], a[58:59], v[106:107], v[156:159]// 00000000B308: D3E1009C 0E72D53A
	v_mfma_f32_16x16x16_bf16 v[156:159], a[60:61], v[108:109], v[156:159]// 00000000B310: D3E1009C 0E72D93C
	v_mfma_f32_16x16x16_bf16 v[156:159], a[62:63], v[110:111], v[156:159]// 00000000B318: D3E1009C 0E72DD3E
	s_cmp_le_i32 s90, s89                                      // 00000000B320: BF05595A
	s_cbranch_scc1 label_24BE                                  // 00000000B324: BF850073
	v_mov_b32_e32 v55, 0xff800000                              // 00000000B328: 7E6E02FF FF800000
	s_mov_b32 s60, s90                                         // 00000000B330: BEBC005A
	s_add_u32 s61, s89, 0xff                                   // 00000000B334: 803DFF59 000000FF
	v_mov_b32_e32 v39, s61                                     // 00000000B33C: 7E4E023D
	v_lshrrev_b32_e32 v31, 4, v0                               // 00000000B340: 203E0084
	v_mul_i32_i24_e32 v31, 4, v31                              // 00000000B344: 0C3E3E84
	v_add_u32_e32 v31, s60, v31                                // 00000000B348: 683E3E3C
	v_and_b32_e32 v40, 15, v0                                  // 00000000B34C: 2650008F
	v_lshrrev_b32_e32 v40, 3, v40                              // 00000000B350: 20505083
	s_mov_b32 s61, 2                                           // 00000000B354: BEBD0082
	s_mul_i32 s60, 16, s7                                      // 00000000B358: 923C0790
	v_add_u32_e32 v40, s61, v40                                // 00000000B35C: 6850503D
	v_sub_u32_e32 v31, v31, v40                                // 00000000B360: 6A3E511F
	v_add_u32_e32 v31, s60, v31                                // 00000000B364: 683E3E3C
	v_add_u32_e32 v32, 1, v31                                  // 00000000B368: 68403E81
	v_add_u32_e32 v33, 2, v31                                  // 00000000B36C: 68423E82
	v_add_u32_e32 v34, 3, v31                                  // 00000000B370: 68443E83
	v_cmp_le_u32_e64 s[40:41], v31, v39                        // 00000000B374: D0CB0028 00024F1F
	v_add_u32_e32 v31, 64, v31                                 // 00000000B37C: 683E3EC0
	s_nop 0                                                    // 00000000B380: BF800000
	v_cndmask_b32_e64 v144, v55, v144, s[40:41]                // 00000000B384: D1000090 00A32137
	v_cmp_le_u32_e64 s[40:41], v32, v39                        // 00000000B38C: D0CB0028 00024F20
	v_add_u32_e32 v32, 64, v32                                 // 00000000B394: 684040C0
	s_nop 0                                                    // 00000000B398: BF800000
	v_cndmask_b32_e64 v145, v55, v145, s[40:41]                // 00000000B39C: D1000091 00A32337
	v_cmp_le_u32_e64 s[40:41], v33, v39                        // 00000000B3A4: D0CB0028 00024F21
	v_add_u32_e32 v33, 64, v33                                 // 00000000B3AC: 684242C0
	s_nop 0                                                    // 00000000B3B0: BF800000
	v_cndmask_b32_e64 v146, v55, v146, s[40:41]                // 00000000B3B4: D1000092 00A32537
	v_cmp_le_u32_e64 s[40:41], v34, v39                        // 00000000B3BC: D0CB0028 00024F22
	v_add_u32_e32 v34, 64, v34                                 // 00000000B3C4: 684444C0
	s_nop 0                                                    // 00000000B3C8: BF800000
	v_cndmask_b32_e64 v147, v55, v147, s[40:41]                // 00000000B3CC: D1000093 00A32737
	v_cmp_le_u32_e64 s[40:41], v31, v39                        // 00000000B3D4: D0CB0028 00024F1F
	v_add_u32_e32 v31, 64, v31                                 // 00000000B3DC: 683E3EC0
	s_nop 0                                                    // 00000000B3E0: BF800000
	v_cndmask_b32_e64 v148, v55, v148, s[40:41]                // 00000000B3E4: D1000094 00A32937
	v_cmp_le_u32_e64 s[40:41], v32, v39                        // 00000000B3EC: D0CB0028 00024F20
	v_add_u32_e32 v32, 64, v32                                 // 00000000B3F4: 684040C0
	s_nop 0                                                    // 00000000B3F8: BF800000
	v_cndmask_b32_e64 v149, v55, v149, s[40:41]                // 00000000B3FC: D1000095 00A32B37
	v_cmp_le_u32_e64 s[40:41], v33, v39                        // 00000000B404: D0CB0028 00024F21
	v_add_u32_e32 v33, 64, v33                                 // 00000000B40C: 684242C0
	s_nop 0                                                    // 00000000B410: BF800000
	v_cndmask_b32_e64 v150, v55, v150, s[40:41]                // 00000000B414: D1000096 00A32D37
	v_cmp_le_u32_e64 s[40:41], v34, v39                        // 00000000B41C: D0CB0028 00024F22
	v_add_u32_e32 v34, 64, v34                                 // 00000000B424: 684444C0
	s_nop 0                                                    // 00000000B428: BF800000
	v_cndmask_b32_e64 v151, v55, v151, s[40:41]                // 00000000B42C: D1000097 00A32F37
	v_cmp_le_u32_e64 s[40:41], v31, v39                        // 00000000B434: D0CB0028 00024F1F
	v_add_u32_e32 v31, 64, v31                                 // 00000000B43C: 683E3EC0
	s_nop 0                                                    // 00000000B440: BF800000
	v_cndmask_b32_e64 v152, v55, v152, s[40:41]                // 00000000B444: D1000098 00A33137
	v_cmp_le_u32_e64 s[40:41], v32, v39                        // 00000000B44C: D0CB0028 00024F20
	v_add_u32_e32 v32, 64, v32                                 // 00000000B454: 684040C0
	s_nop 0                                                    // 00000000B458: BF800000
	v_cndmask_b32_e64 v153, v55, v153, s[40:41]                // 00000000B45C: D1000099 00A33337
	v_cmp_le_u32_e64 s[40:41], v33, v39                        // 00000000B464: D0CB0028 00024F21
	v_add_u32_e32 v33, 64, v33                                 // 00000000B46C: 684242C0
	s_nop 0                                                    // 00000000B470: BF800000
	v_cndmask_b32_e64 v154, v55, v154, s[40:41]                // 00000000B474: D100009A 00A33537
	v_cmp_le_u32_e64 s[40:41], v34, v39                        // 00000000B47C: D0CB0028 00024F22
	v_add_u32_e32 v34, 64, v34                                 // 00000000B484: 684444C0
	s_nop 0                                                    // 00000000B488: BF800000
	v_cndmask_b32_e64 v155, v55, v155, s[40:41]                // 00000000B48C: D100009B 00A33737
	v_cmp_le_u32_e64 s[40:41], v31, v39                        // 00000000B494: D0CB0028 00024F1F
	v_add_u32_e32 v31, 64, v31                                 // 00000000B49C: 683E3EC0
	s_nop 0                                                    // 00000000B4A0: BF800000
	v_cndmask_b32_e64 v156, v55, v156, s[40:41]                // 00000000B4A4: D100009C 00A33937
	v_cmp_le_u32_e64 s[40:41], v32, v39                        // 00000000B4AC: D0CB0028 00024F20
	v_add_u32_e32 v32, 64, v32                                 // 00000000B4B4: 684040C0
	s_nop 0                                                    // 00000000B4B8: BF800000
	v_cndmask_b32_e64 v157, v55, v157, s[40:41]                // 00000000B4BC: D100009D 00A33B37
	v_cmp_le_u32_e64 s[40:41], v33, v39                        // 00000000B4C4: D0CB0028 00024F21
	v_add_u32_e32 v33, 64, v33                                 // 00000000B4CC: 684242C0
	s_nop 0                                                    // 00000000B4D0: BF800000
	v_cndmask_b32_e64 v158, v55, v158, s[40:41]                // 00000000B4D4: D100009E 00A33D37
	v_cmp_le_u32_e64 s[40:41], v34, v39                        // 00000000B4DC: D0CB0028 00024F22
	v_add_u32_e32 v34, 64, v34                                 // 00000000B4E4: 684444C0
	s_nop 0                                                    // 00000000B4E8: BF800000
	v_cndmask_b32_e64 v159, v55, v159, s[40:41]                // 00000000B4EC: D100009F 00A33F37

000000000000b4f4 <label_24BE>:
	s_add_u32 s90, s91, s90                                    // 00000000B4F4: 805A5A5B
	s_nop 0                                                    // 00000000B4F8: BF800000
	buffer_load_dwordx4 a[96:99], v29, s[16:19], 0 offen       // 00000000B4FC: E05C1000 8084601D
	s_nop 8                                                    // 00000000B504: BF800008
	buffer_load_dwordx4 a[100:103], v29, s[16:19], 0 offen offset:1024// 00000000B508: E05C1400 8084641D
	v_mov_b32_e32 v50, v112                                    // 00000000B510: 7E640370
	v_max3_f32 v50, v112, v113, v50                            // 00000000B514: D1D30032 04CAE370
	v_max3_f32 v50, v114, v115, v50                            // 00000000B51C: D1D30032 04CAE772
	v_max3_f32 v50, v116, v117, v50                            // 00000000B524: D1D30032 04CAEB74
	v_max3_f32 v50, v118, v119, v50                            // 00000000B52C: D1D30032 04CAEF76
	v_max3_f32 v50, v120, v121, v50                            // 00000000B534: D1D30032 04CAF378
	v_max3_f32 v50, v122, v123, v50                            // 00000000B53C: D1D30032 04CAF77A
	v_max3_f32 v50, v124, v125, v50                            // 00000000B544: D1D30032 04CAFB7C
	v_max3_f32 v50, v126, v127, v50                            // 00000000B54C: D1D30032 04CAFF7E
	ds_write_b32 v11, v50                                      // 00000000B554: D81A0000 0000320B
	buffer_load_dwordx4 a[104:107], v29, s[16:19], 0 offen offset:2048// 00000000B55C: E05C1800 8084681D
	s_waitcnt lgkmcnt(0)                                       // 00000000B564: BF8CC07F
	s_barrier                                                  // 00000000B568: BF8A0000
	ds_read_b32 v64, v10                                       // 00000000B56C: D86C0000 4000000A
	buffer_load_dwordx4 a[108:111], v29, s[16:19], 0 offen offset:3072// 00000000B574: E05C1C00 80846C1D
	ds_read_b32 v65, v10 offset:64                             // 00000000B57C: D86C0040 4100000A
	ds_read_b32 v66, v10 offset:128                            // 00000000B584: D86C0080 4200000A
	ds_read_b32 v67, v10 offset:192                            // 00000000B58C: D86C00C0 4300000A
	ds_read_b32 v68, v10 offset:256                            // 00000000B594: D86C0100 4400000A
	ds_read_b32 v69, v10 offset:320                            // 00000000B59C: D86C0140 4500000A
	ds_read_b32 v70, v10 offset:384                            // 00000000B5A4: D86C0180 4600000A
	ds_read_b32 v71, v10 offset:448                            // 00000000B5AC: D86C01C0 4700000A
	ds_read_b32 v72, v10 offset:512                            // 00000000B5B4: D86C0200 4800000A
	buffer_load_dwordx4 a[112:115], v30, s[16:19], 0 offen     // 00000000B5BC: E05C1000 8084701E
	ds_read_b32 v73, v10 offset:576                            // 00000000B5C4: D86C0240 4900000A
	ds_read_b32 v74, v10 offset:640                            // 00000000B5CC: D86C0280 4A00000A
	ds_read_b32 v75, v10 offset:704                            // 00000000B5D4: D86C02C0 4B00000A
	ds_read_b32 v76, v10 offset:768                            // 00000000B5DC: D86C0300 4C00000A
	ds_read_b32 v77, v10 offset:832                            // 00000000B5E4: D86C0340 4D00000A
	ds_read_b32 v78, v10 offset:896                            // 00000000B5EC: D86C0380 4E00000A
	ds_read_b32 v79, v10 offset:960                            // 00000000B5F4: D86C03C0 4F00000A
	buffer_load_dwordx4 a[116:119], v30, s[16:19], 0 offen offset:1024// 00000000B5FC: E05C1400 8084741E
	buffer_load_dwordx4 a[120:123], v30, s[16:19], 0 offen offset:2048// 00000000B604: E05C1800 8084781E
	s_waitcnt lgkmcnt(0)                                       // 00000000B60C: BF8CC07F
	v_max3_f32 v50, v64, v65, v50                              // 00000000B610: D1D30032 04CA8340
	v_max3_f32 v50, v66, v67, v50                              // 00000000B618: D1D30032 04CA8742
	v_max3_f32 v50, v68, v69, v50                              // 00000000B620: D1D30032 04CA8B44
	v_max3_f32 v50, v70, v71, v50                              // 00000000B628: D1D30032 04CA8F46
	v_max3_f32 v50, v72, v73, v50                              // 00000000B630: D1D30032 04CA9348
	v_max3_f32 v50, v74, v75, v50                              // 00000000B638: D1D30032 04CA974A
	v_max3_f32 v50, v76, v77, v50                              // 00000000B640: D1D30032 04CA9B4C
	v_max3_f32 v50, v78, v79, v50                              // 00000000B648: D1D30032 04CA9F4E
	buffer_load_dwordx4 a[124:127], v30, s[16:19], 0 offen offset:3072// 00000000B650: E05C1C00 80847C1E
	v_cmp_eq_u32_e64 s[40:41], v55, v14                        // 00000000B658: D0CA0028 00021D37
	s_nop 1                                                    // 00000000B660: BF800001
	v_max_f32_e32 v16, v50, v14                                // 00000000B664: 16201D32
	v_sub_f32_e32 v51, v14, v16                                // 00000000B668: 0466210E
	v_cndmask_b32_e64 v51, v51, 0, s[40:41]                    // 00000000B66C: D1000033 00A10133
	v_mov_b32_e32 v14, v16                                     // 00000000B674: 7E1C0310
	v_mul_f32_e32 v53, s64, v16                                // 00000000B678: 0A6A2040
	v_mul_f32_e32 v51, s64, v51                                // 00000000B67C: 0A666640
	v_exp_f32_e32 v51, v51                                     // 00000000B680: 7E664133
	buffer_load_dwordx4 a[192:195], v200, s[20:23], 0 offen    // 00000000B684: E05C1000 8085C0C8
	v_fma_f32 v112, v112, s64, -v53                            // 00000000B68C: D1CB0070 84D48170
	v_fma_f32 v113, v113, s64, -v53                            // 00000000B694: D1CB0071 84D48171
	v_fma_f32 v114, v114, s64, -v53                            // 00000000B69C: D1CB0072 84D48172
	v_fma_f32 v115, v115, s64, -v53                            // 00000000B6A4: D1CB0073 84D48173
	v_fma_f32 v116, v116, s64, -v53                            // 00000000B6AC: D1CB0074 84D48174
	v_fma_f32 v117, v117, s64, -v53                            // 00000000B6B4: D1CB0075 84D48175
	v_fma_f32 v118, v118, s64, -v53                            // 00000000B6BC: D1CB0076 84D48176
	v_fma_f32 v119, v119, s64, -v53                            // 00000000B6C4: D1CB0077 84D48177
	v_fma_f32 v120, v120, s64, -v53                            // 00000000B6CC: D1CB0078 84D48178
	v_fma_f32 v121, v121, s64, -v53                            // 00000000B6D4: D1CB0079 84D48179
	v_fma_f32 v122, v122, s64, -v53                            // 00000000B6DC: D1CB007A 84D4817A
	v_fma_f32 v123, v123, s64, -v53                            // 00000000B6E4: D1CB007B 84D4817B
	v_fma_f32 v124, v124, s64, -v53                            // 00000000B6EC: D1CB007C 84D4817C
	v_fma_f32 v125, v125, s64, -v53                            // 00000000B6F4: D1CB007D 84D4817D
	v_fma_f32 v126, v126, s64, -v53                            // 00000000B6FC: D1CB007E 84D4817E
	v_fma_f32 v127, v127, s64, -v53                            // 00000000B704: D1CB007F 84D4817F
	v_exp_f32_e32 v112, v112                                   // 00000000B70C: 7EE04170
	v_exp_f32_e32 v113, v113                                   // 00000000B710: 7EE24171
	v_exp_f32_e32 v114, v114                                   // 00000000B714: 7EE44172
	v_exp_f32_e32 v115, v115                                   // 00000000B718: 7EE64173
	v_exp_f32_e32 v116, v116                                   // 00000000B71C: 7EE84174
	v_exp_f32_e32 v117, v117                                   // 00000000B720: 7EEA4175
	v_exp_f32_e32 v118, v118                                   // 00000000B724: 7EEC4176
	v_exp_f32_e32 v119, v119                                   // 00000000B728: 7EEE4177
	v_exp_f32_e32 v120, v120                                   // 00000000B72C: 7EF04178
	v_exp_f32_e32 v121, v121                                   // 00000000B730: 7EF24179
	v_exp_f32_e32 v122, v122                                   // 00000000B734: 7EF4417A
	v_exp_f32_e32 v123, v123                                   // 00000000B738: 7EF6417B
	v_exp_f32_e32 v124, v124                                   // 00000000B73C: 7EF8417C
	v_exp_f32_e32 v125, v125                                   // 00000000B740: 7EFA417D
	v_exp_f32_e32 v126, v126                                   // 00000000B744: 7EFC417E
	v_exp_f32_e32 v127, v127                                   // 00000000B748: 7EFE417F
	buffer_load_dwordx4 a[196:199], v201, s[20:23], 0 offen    // 00000000B74C: E05C1000 8085C4C9
	v_mul_f32_e32 v43, v51, v43                                // 00000000B754: 0A565733
	v_mov_b32_e32 v45, v112                                    // 00000000B758: 7E5A0370
	v_add_f32_e32 v45, v113, v45                               // 00000000B75C: 025A5B71
	v_add_f32_e32 v45, v114, v45                               // 00000000B760: 025A5B72
	v_add_f32_e32 v45, v115, v45                               // 00000000B764: 025A5B73
	v_add_f32_e32 v45, v116, v45                               // 00000000B768: 025A5B74
	v_add_f32_e32 v45, v117, v45                               // 00000000B76C: 025A5B75
	v_add_f32_e32 v45, v118, v45                               // 00000000B770: 025A5B76
	v_add_f32_e32 v45, v119, v45                               // 00000000B774: 025A5B77
	v_add_f32_e32 v45, v120, v45                               // 00000000B778: 025A5B78
	v_add_f32_e32 v45, v121, v45                               // 00000000B77C: 025A5B79
	v_add_f32_e32 v45, v122, v45                               // 00000000B780: 025A5B7A
	v_add_f32_e32 v45, v123, v45                               // 00000000B784: 025A5B7B
	v_add_f32_e32 v45, v124, v45                               // 00000000B788: 025A5B7C
	v_add_f32_e32 v45, v125, v45                               // 00000000B78C: 025A5B7D
	v_add_f32_e32 v45, v126, v45                               // 00000000B790: 025A5B7E
	v_add_f32_e32 v45, v127, v45                               // 00000000B794: 025A5B7F
	v_add_f32_e32 v43, v45, v43                                // 00000000B798: 0256572D
	buffer_load_dwordx4 a[200:203], v202, s[20:23], 0 offen    // 00000000B79C: E05C1000 8085C8CA
	v_cmp_u_f32_e64 s[40:41], v112, v112                       // 00000000B7A4: D0480028 0002E170
	v_add3_u32 v19, v112, v22, 1                               // 00000000B7AC: D1FF0013 02062D70
	v_cndmask_b32_e64 v39, v19, v21, s[40:41]                  // 00000000B7B4: D1000027 00A22B13
	v_cmp_u_f32_e64 s[40:41], v113, v113                       // 00000000B7BC: D0480028 0002E371
	v_add3_u32 v19, v113, v22, 1                               // 00000000B7C4: D1FF0013 02062D71
	v_cndmask_b32_e64 v40, v19, v21, s[40:41]                  // 00000000B7CC: D1000028 00A22B13
	v_perm_b32 v112, v40, v39, s52                             // 00000000B7D4: D1ED0070 00D24F28
	v_cmp_u_f32_e64 s[40:41], v114, v114                       // 00000000B7DC: D0480028 0002E572
	v_add3_u32 v19, v114, v22, 1                               // 00000000B7E4: D1FF0013 02062D72
	v_cndmask_b32_e64 v39, v19, v21, s[40:41]                  // 00000000B7EC: D1000027 00A22B13
	v_cmp_u_f32_e64 s[40:41], v115, v115                       // 00000000B7F4: D0480028 0002E773
	v_add3_u32 v19, v115, v22, 1                               // 00000000B7FC: D1FF0013 02062D73
	v_cndmask_b32_e64 v40, v19, v21, s[40:41]                  // 00000000B804: D1000028 00A22B13
	v_perm_b32 v113, v40, v39, s52                             // 00000000B80C: D1ED0071 00D24F28
	v_cmp_u_f32_e64 s[40:41], v116, v116                       // 00000000B814: D0480028 0002E974
	v_add3_u32 v19, v116, v22, 1                               // 00000000B81C: D1FF0013 02062D74
	v_cndmask_b32_e64 v39, v19, v21, s[40:41]                  // 00000000B824: D1000027 00A22B13
	v_cmp_u_f32_e64 s[40:41], v117, v117                       // 00000000B82C: D0480028 0002EB75
	v_add3_u32 v19, v117, v22, 1                               // 00000000B834: D1FF0013 02062D75
	v_cndmask_b32_e64 v40, v19, v21, s[40:41]                  // 00000000B83C: D1000028 00A22B13
	v_perm_b32 v114, v40, v39, s52                             // 00000000B844: D1ED0072 00D24F28
	v_cmp_u_f32_e64 s[40:41], v118, v118                       // 00000000B84C: D0480028 0002ED76
	v_add3_u32 v19, v118, v22, 1                               // 00000000B854: D1FF0013 02062D76
	v_cndmask_b32_e64 v39, v19, v21, s[40:41]                  // 00000000B85C: D1000027 00A22B13
	v_cmp_u_f32_e64 s[40:41], v119, v119                       // 00000000B864: D0480028 0002EF77
	v_add3_u32 v19, v119, v22, 1                               // 00000000B86C: D1FF0013 02062D77
	v_cndmask_b32_e64 v40, v19, v21, s[40:41]                  // 00000000B874: D1000028 00A22B13
	v_perm_b32 v115, v40, v39, s52                             // 00000000B87C: D1ED0073 00D24F28
	v_cmp_u_f32_e64 s[40:41], v120, v120                       // 00000000B884: D0480028 0002F178
	v_add3_u32 v19, v120, v22, 1                               // 00000000B88C: D1FF0013 02062D78
	v_cndmask_b32_e64 v39, v19, v21, s[40:41]                  // 00000000B894: D1000027 00A22B13
	v_cmp_u_f32_e64 s[40:41], v121, v121                       // 00000000B89C: D0480028 0002F379
	v_add3_u32 v19, v121, v22, 1                               // 00000000B8A4: D1FF0013 02062D79
	v_cndmask_b32_e64 v40, v19, v21, s[40:41]                  // 00000000B8AC: D1000028 00A22B13
	v_perm_b32 v116, v40, v39, s52                             // 00000000B8B4: D1ED0074 00D24F28
	v_cmp_u_f32_e64 s[40:41], v122, v122                       // 00000000B8BC: D0480028 0002F57A
	v_add3_u32 v19, v122, v22, 1                               // 00000000B8C4: D1FF0013 02062D7A
	v_cndmask_b32_e64 v39, v19, v21, s[40:41]                  // 00000000B8CC: D1000027 00A22B13
	v_cmp_u_f32_e64 s[40:41], v123, v123                       // 00000000B8D4: D0480028 0002F77B
	v_add3_u32 v19, v123, v22, 1                               // 00000000B8DC: D1FF0013 02062D7B
	v_cndmask_b32_e64 v40, v19, v21, s[40:41]                  // 00000000B8E4: D1000028 00A22B13
	v_perm_b32 v117, v40, v39, s52                             // 00000000B8EC: D1ED0075 00D24F28
	v_cmp_u_f32_e64 s[40:41], v124, v124                       // 00000000B8F4: D0480028 0002F97C
	v_add3_u32 v19, v124, v22, 1                               // 00000000B8FC: D1FF0013 02062D7C
	v_cndmask_b32_e64 v39, v19, v21, s[40:41]                  // 00000000B904: D1000027 00A22B13
	v_cmp_u_f32_e64 s[40:41], v125, v125                       // 00000000B90C: D0480028 0002FB7D
	v_add3_u32 v19, v125, v22, 1                               // 00000000B914: D1FF0013 02062D7D
	v_cndmask_b32_e64 v40, v19, v21, s[40:41]                  // 00000000B91C: D1000028 00A22B13
	v_perm_b32 v118, v40, v39, s52                             // 00000000B924: D1ED0076 00D24F28
	v_cmp_u_f32_e64 s[40:41], v126, v126                       // 00000000B92C: D0480028 0002FD7E
	v_add3_u32 v19, v126, v22, 1                               // 00000000B934: D1FF0013 02062D7E
	v_cndmask_b32_e64 v39, v19, v21, s[40:41]                  // 00000000B93C: D1000027 00A22B13
	v_cmp_u_f32_e64 s[40:41], v127, v127                       // 00000000B944: D0480028 0002FF7F
	v_add3_u32 v19, v127, v22, 1                               // 00000000B94C: D1FF0013 02062D7F
	v_cndmask_b32_e64 v40, v19, v21, s[40:41]                  // 00000000B954: D1000028 00A22B13
	v_perm_b32 v119, v40, v39, s52                             // 00000000B95C: D1ED0077 00D24F28
	buffer_load_dwordx4 a[204:207], v203, s[20:23], 0 offen    // 00000000B964: E05C1000 8085CCCB
	buffer_load_dwordx4 a[208:211], v204, s[20:23], 0 offen    // 00000000B96C: E05C1000 8085D0CC
	ds_write_b64 v13, v[112:113] offset:4096                   // 00000000B974: D89A1000 0000700D
	ds_write_b64 v13, v[114:115] offset:6144                   // 00000000B97C: D89A1800 0000720D
	ds_write_b64 v13, v[116:117] offset:8192                   // 00000000B984: D89A2000 0000740D
	ds_write_b64 v13, v[118:119] offset:10240                  // 00000000B98C: D89A2800 0000760D
	buffer_load_dwordx4 a[212:215], v205, s[20:23], 0 offen    // 00000000B994: E05C1000 8085D4CD
	s_waitcnt lgkmcnt(0)                                       // 00000000B99C: BF8CC07F
	s_barrier                                                  // 00000000B9A0: BF8A0000
	ds_read_b64 v[112:113], v12 offset:4096                    // 00000000B9A4: D8EC1000 7000000C
	ds_read_b64 v[114:115], v12 offset:4224                    // 00000000B9AC: D8EC1080 7200000C
	ds_read_b64 v[116:117], v12 offset:5120                    // 00000000B9B4: D8EC1400 7400000C
	ds_read_b64 v[118:119], v12 offset:5248                    // 00000000B9BC: D8EC1480 7600000C
	ds_read_b64 v[120:121], v12 offset:6144                    // 00000000B9C4: D8EC1800 7800000C
	ds_read_b64 v[122:123], v12 offset:6272                    // 00000000B9CC: D8EC1880 7A00000C
	ds_read_b64 v[124:125], v12 offset:7168                    // 00000000B9D4: D8EC1C00 7C00000C
	ds_read_b64 v[126:127], v12 offset:7296                    // 00000000B9DC: D8EC1C80 7E00000C
	ds_read_b64 v[128:129], v12 offset:8192                    // 00000000B9E4: D8EC2000 8000000C
	ds_read_b64 v[130:131], v12 offset:8320                    // 00000000B9EC: D8EC2080 8200000C
	ds_read_b64 v[132:133], v12 offset:9216                    // 00000000B9F4: D8EC2400 8400000C
	ds_read_b64 v[134:135], v12 offset:9344                    // 00000000B9FC: D8EC2480 8600000C
	ds_read_b64 v[136:137], v12 offset:10240                   // 00000000BA04: D8EC2800 8800000C
	ds_read_b64 v[138:139], v12 offset:10368                   // 00000000BA0C: D8EC2880 8A00000C
	ds_read_b64 v[140:141], v12 offset:11264                   // 00000000BA14: D8EC2C00 8C00000C
	ds_read_b64 v[142:143], v12 offset:11392                   // 00000000BA1C: D8EC2C80 8E00000C
	buffer_load_dwordx4 a[216:219], v206, s[20:23], 0 offen    // 00000000BA24: E05C1000 8085D8CE
	buffer_load_dwordx4 a[220:223], v207, s[20:23], 0 offen    // 00000000BA2C: E05C1000 8085DCCF
	s_waitcnt lgkmcnt(0)                                       // 00000000BA34: BF8CC07F
	s_nop 8                                                    // 00000000BA38: BF800008
	v_mov_b32_e32 v50, v144                                    // 00000000BA3C: 7E640390
	v_max3_f32 v50, v144, v145, v50                            // 00000000BA40: D1D30032 04CB2390
	v_max3_f32 v50, v146, v147, v50                            // 00000000BA48: D1D30032 04CB2792
	v_max3_f32 v50, v148, v149, v50                            // 00000000BA50: D1D30032 04CB2B94
	v_max3_f32 v50, v150, v151, v50                            // 00000000BA58: D1D30032 04CB2F96
	v_max3_f32 v50, v152, v153, v50                            // 00000000BA60: D1D30032 04CB3398
	v_max3_f32 v50, v154, v155, v50                            // 00000000BA68: D1D30032 04CB379A
	v_max3_f32 v50, v156, v157, v50                            // 00000000BA70: D1D30032 04CB3B9C
	v_max3_f32 v50, v158, v159, v50                            // 00000000BA78: D1D30032 04CB3F9E
	ds_write_b32 v11, v50                                      // 00000000BA80: D81A0000 0000320B
	s_waitcnt lgkmcnt(0)                                       // 00000000BA88: BF8CC07F
	s_barrier                                                  // 00000000BA8C: BF8A0000
	ds_read_b32 v64, v10                                       // 00000000BA90: D86C0000 4000000A
	ds_read_b32 v65, v10 offset:64                             // 00000000BA98: D86C0040 4100000A
	ds_read_b32 v66, v10 offset:128                            // 00000000BAA0: D86C0080 4200000A
	ds_read_b32 v67, v10 offset:192                            // 00000000BAA8: D86C00C0 4300000A
	ds_read_b32 v68, v10 offset:256                            // 00000000BAB0: D86C0100 4400000A
	ds_read_b32 v69, v10 offset:320                            // 00000000BAB8: D86C0140 4500000A
	ds_read_b32 v70, v10 offset:384                            // 00000000BAC0: D86C0180 4600000A
	ds_read_b32 v71, v10 offset:448                            // 00000000BAC8: D86C01C0 4700000A
	ds_read_b32 v72, v10 offset:512                            // 00000000BAD0: D86C0200 4800000A
	ds_read_b32 v73, v10 offset:576                            // 00000000BAD8: D86C0240 4900000A
	ds_read_b32 v74, v10 offset:640                            // 00000000BAE0: D86C0280 4A00000A
	ds_read_b32 v75, v10 offset:704                            // 00000000BAE8: D86C02C0 4B00000A
	ds_read_b32 v76, v10 offset:768                            // 00000000BAF0: D86C0300 4C00000A
	ds_read_b32 v77, v10 offset:832                            // 00000000BAF8: D86C0340 4D00000A
	ds_read_b32 v78, v10 offset:896                            // 00000000BB00: D86C0380 4E00000A
	ds_read_b32 v79, v10 offset:960                            // 00000000BB08: D86C03C0 4F00000A
	s_waitcnt lgkmcnt(0)                                       // 00000000BB10: BF8CC07F
	v_max3_f32 v50, v64, v65, v50                              // 00000000BB14: D1D30032 04CA8340
	v_max3_f32 v50, v66, v67, v50                              // 00000000BB1C: D1D30032 04CA8742
	v_max3_f32 v50, v68, v69, v50                              // 00000000BB24: D1D30032 04CA8B44
	v_max3_f32 v50, v70, v71, v50                              // 00000000BB2C: D1D30032 04CA8F46
	v_max3_f32 v50, v72, v73, v50                              // 00000000BB34: D1D30032 04CA9348
	v_max3_f32 v50, v74, v75, v50                              // 00000000BB3C: D1D30032 04CA974A
	v_max3_f32 v50, v76, v77, v50                              // 00000000BB44: D1D30032 04CA9B4C
	v_max3_f32 v50, v78, v79, v50                              // 00000000BB4C: D1D30032 04CA9F4E
	v_cmp_eq_u32_e64 s[40:41], v55, v15                        // 00000000BB54: D0CA0028 00021F37
	s_nop 1                                                    // 00000000BB5C: BF800001
	v_max_f32_e32 v16, v50, v15                                // 00000000BB60: 16201F32
	v_sub_f32_e32 v52, v15, v16                                // 00000000BB64: 0468210F
	v_cndmask_b32_e64 v52, v52, 0, s[40:41]                    // 00000000BB68: D1000034 00A10134
	v_mov_b32_e32 v15, v16                                     // 00000000BB70: 7E1E0310
	v_mul_f32_e32 v53, s64, v16                                // 00000000BB74: 0A6A2040
	v_mul_f32_e32 v52, s64, v52                                // 00000000BB78: 0A686840
	v_exp_f32_e32 v52, v52                                     // 00000000BB7C: 7E684134
	v_fma_f32 v144, v144, s64, -v53                            // 00000000BB80: D1CB0090 84D48190
	v_fma_f32 v145, v145, s64, -v53                            // 00000000BB88: D1CB0091 84D48191
	v_fma_f32 v146, v146, s64, -v53                            // 00000000BB90: D1CB0092 84D48192
	v_fma_f32 v147, v147, s64, -v53                            // 00000000BB98: D1CB0093 84D48193
	v_fma_f32 v148, v148, s64, -v53                            // 00000000BBA0: D1CB0094 84D48194
	v_fma_f32 v149, v149, s64, -v53                            // 00000000BBA8: D1CB0095 84D48195
	v_fma_f32 v150, v150, s64, -v53                            // 00000000BBB0: D1CB0096 84D48196
	v_fma_f32 v151, v151, s64, -v53                            // 00000000BBB8: D1CB0097 84D48197
	v_fma_f32 v152, v152, s64, -v53                            // 00000000BBC0: D1CB0098 84D48198
	v_fma_f32 v153, v153, s64, -v53                            // 00000000BBC8: D1CB0099 84D48199
	v_fma_f32 v154, v154, s64, -v53                            // 00000000BBD0: D1CB009A 84D4819A
	v_fma_f32 v155, v155, s64, -v53                            // 00000000BBD8: D1CB009B 84D4819B
	v_fma_f32 v156, v156, s64, -v53                            // 00000000BBE0: D1CB009C 84D4819C
	v_fma_f32 v157, v157, s64, -v53                            // 00000000BBE8: D1CB009D 84D4819D
	v_fma_f32 v158, v158, s64, -v53                            // 00000000BBF0: D1CB009E 84D4819E
	v_fma_f32 v159, v159, s64, -v53                            // 00000000BBF8: D1CB009F 84D4819F
	v_exp_f32_e32 v144, v144                                   // 00000000BC00: 7F204190
	v_exp_f32_e32 v145, v145                                   // 00000000BC04: 7F224191
	v_exp_f32_e32 v146, v146                                   // 00000000BC08: 7F244192
	v_exp_f32_e32 v147, v147                                   // 00000000BC0C: 7F264193
	v_exp_f32_e32 v148, v148                                   // 00000000BC10: 7F284194
	v_exp_f32_e32 v149, v149                                   // 00000000BC14: 7F2A4195
	v_exp_f32_e32 v150, v150                                   // 00000000BC18: 7F2C4196
	v_exp_f32_e32 v151, v151                                   // 00000000BC1C: 7F2E4197
	v_exp_f32_e32 v152, v152                                   // 00000000BC20: 7F304198
	v_exp_f32_e32 v153, v153                                   // 00000000BC24: 7F324199
	v_exp_f32_e32 v154, v154                                   // 00000000BC28: 7F34419A
	v_exp_f32_e32 v155, v155                                   // 00000000BC2C: 7F36419B
	v_exp_f32_e32 v156, v156                                   // 00000000BC30: 7F38419C
	v_exp_f32_e32 v157, v157                                   // 00000000BC34: 7F3A419D
	v_exp_f32_e32 v158, v158                                   // 00000000BC38: 7F3C419E
	v_exp_f32_e32 v159, v159                                   // 00000000BC3C: 7F3E419F
	v_mul_f32_e32 v44, v52, v44                                // 00000000BC40: 0A585934
	v_mov_b32_e32 v45, v144                                    // 00000000BC44: 7E5A0390
	v_add_f32_e32 v45, v145, v45                               // 00000000BC48: 025A5B91
	v_add_f32_e32 v45, v146, v45                               // 00000000BC4C: 025A5B92
	v_add_f32_e32 v45, v147, v45                               // 00000000BC50: 025A5B93
	v_add_f32_e32 v45, v148, v45                               // 00000000BC54: 025A5B94
	v_add_f32_e32 v45, v149, v45                               // 00000000BC58: 025A5B95
	v_add_f32_e32 v45, v150, v45                               // 00000000BC5C: 025A5B96
	v_add_f32_e32 v45, v151, v45                               // 00000000BC60: 025A5B97
	v_add_f32_e32 v45, v152, v45                               // 00000000BC64: 025A5B98
	v_add_f32_e32 v45, v153, v45                               // 00000000BC68: 025A5B99
	v_add_f32_e32 v45, v154, v45                               // 00000000BC6C: 025A5B9A
	v_add_f32_e32 v45, v155, v45                               // 00000000BC70: 025A5B9B
	v_add_f32_e32 v45, v156, v45                               // 00000000BC74: 025A5B9C
	v_add_f32_e32 v45, v157, v45                               // 00000000BC78: 025A5B9D
	v_add_f32_e32 v45, v158, v45                               // 00000000BC7C: 025A5B9E
	v_add_f32_e32 v45, v159, v45                               // 00000000BC80: 025A5B9F
	v_add_f32_e32 v44, v45, v44                                // 00000000BC84: 0258592D
	v_cmp_u_f32_e64 s[40:41], v144, v144                       // 00000000BC88: D0480028 00032190
	v_add3_u32 v19, v144, v22, 1                               // 00000000BC90: D1FF0013 02062D90
	v_cndmask_b32_e64 v39, v19, v21, s[40:41]                  // 00000000BC98: D1000027 00A22B13
	v_cmp_u_f32_e64 s[40:41], v145, v145                       // 00000000BCA0: D0480028 00032391
	v_add3_u32 v19, v145, v22, 1                               // 00000000BCA8: D1FF0013 02062D91
	v_cndmask_b32_e64 v40, v19, v21, s[40:41]                  // 00000000BCB0: D1000028 00A22B13
	v_perm_b32 v144, v40, v39, s52                             // 00000000BCB8: D1ED0090 00D24F28
	v_cmp_u_f32_e64 s[40:41], v146, v146                       // 00000000BCC0: D0480028 00032592
	v_add3_u32 v19, v146, v22, 1                               // 00000000BCC8: D1FF0013 02062D92
	v_cndmask_b32_e64 v39, v19, v21, s[40:41]                  // 00000000BCD0: D1000027 00A22B13
	v_cmp_u_f32_e64 s[40:41], v147, v147                       // 00000000BCD8: D0480028 00032793
	v_add3_u32 v19, v147, v22, 1                               // 00000000BCE0: D1FF0013 02062D93
	v_cndmask_b32_e64 v40, v19, v21, s[40:41]                  // 00000000BCE8: D1000028 00A22B13
	v_perm_b32 v145, v40, v39, s52                             // 00000000BCF0: D1ED0091 00D24F28
	v_cmp_u_f32_e64 s[40:41], v148, v148                       // 00000000BCF8: D0480028 00032994
	v_add3_u32 v19, v148, v22, 1                               // 00000000BD00: D1FF0013 02062D94
	v_cndmask_b32_e64 v39, v19, v21, s[40:41]                  // 00000000BD08: D1000027 00A22B13
	v_cmp_u_f32_e64 s[40:41], v149, v149                       // 00000000BD10: D0480028 00032B95
	v_add3_u32 v19, v149, v22, 1                               // 00000000BD18: D1FF0013 02062D95
	v_cndmask_b32_e64 v40, v19, v21, s[40:41]                  // 00000000BD20: D1000028 00A22B13
	v_perm_b32 v146, v40, v39, s52                             // 00000000BD28: D1ED0092 00D24F28
	v_cmp_u_f32_e64 s[40:41], v150, v150                       // 00000000BD30: D0480028 00032D96
	v_add3_u32 v19, v150, v22, 1                               // 00000000BD38: D1FF0013 02062D96
	v_cndmask_b32_e64 v39, v19, v21, s[40:41]                  // 00000000BD40: D1000027 00A22B13
	v_cmp_u_f32_e64 s[40:41], v151, v151                       // 00000000BD48: D0480028 00032F97
	v_add3_u32 v19, v151, v22, 1                               // 00000000BD50: D1FF0013 02062D97
	v_cndmask_b32_e64 v40, v19, v21, s[40:41]                  // 00000000BD58: D1000028 00A22B13
	v_perm_b32 v147, v40, v39, s52                             // 00000000BD60: D1ED0093 00D24F28
	v_cmp_u_f32_e64 s[40:41], v152, v152                       // 00000000BD68: D0480028 00033198
	v_add3_u32 v19, v152, v22, 1                               // 00000000BD70: D1FF0013 02062D98
	v_cndmask_b32_e64 v39, v19, v21, s[40:41]                  // 00000000BD78: D1000027 00A22B13
	v_cmp_u_f32_e64 s[40:41], v153, v153                       // 00000000BD80: D0480028 00033399
	v_add3_u32 v19, v153, v22, 1                               // 00000000BD88: D1FF0013 02062D99
	v_cndmask_b32_e64 v40, v19, v21, s[40:41]                  // 00000000BD90: D1000028 00A22B13
	v_perm_b32 v148, v40, v39, s52                             // 00000000BD98: D1ED0094 00D24F28
	v_cmp_u_f32_e64 s[40:41], v154, v154                       // 00000000BDA0: D0480028 0003359A
	v_add3_u32 v19, v154, v22, 1                               // 00000000BDA8: D1FF0013 02062D9A
	v_cndmask_b32_e64 v39, v19, v21, s[40:41]                  // 00000000BDB0: D1000027 00A22B13
	v_cmp_u_f32_e64 s[40:41], v155, v155                       // 00000000BDB8: D0480028 0003379B
	v_add3_u32 v19, v155, v22, 1                               // 00000000BDC0: D1FF0013 02062D9B
	v_cndmask_b32_e64 v40, v19, v21, s[40:41]                  // 00000000BDC8: D1000028 00A22B13
	v_perm_b32 v149, v40, v39, s52                             // 00000000BDD0: D1ED0095 00D24F28
	v_cmp_u_f32_e64 s[40:41], v156, v156                       // 00000000BDD8: D0480028 0003399C
	v_add3_u32 v19, v156, v22, 1                               // 00000000BDE0: D1FF0013 02062D9C
	v_cndmask_b32_e64 v39, v19, v21, s[40:41]                  // 00000000BDE8: D1000027 00A22B13
	v_cmp_u_f32_e64 s[40:41], v157, v157                       // 00000000BDF0: D0480028 00033B9D
	v_add3_u32 v19, v157, v22, 1                               // 00000000BDF8: D1FF0013 02062D9D
	v_cndmask_b32_e64 v40, v19, v21, s[40:41]                  // 00000000BE00: D1000028 00A22B13
	v_perm_b32 v150, v40, v39, s52                             // 00000000BE08: D1ED0096 00D24F28
	v_cmp_u_f32_e64 s[40:41], v158, v158                       // 00000000BE10: D0480028 00033D9E
	v_add3_u32 v19, v158, v22, 1                               // 00000000BE18: D1FF0013 02062D9E
	v_cndmask_b32_e64 v39, v19, v21, s[40:41]                  // 00000000BE20: D1000027 00A22B13
	v_cmp_u_f32_e64 s[40:41], v159, v159                       // 00000000BE28: D0480028 00033F9F
	v_add3_u32 v19, v159, v22, 1                               // 00000000BE30: D1FF0013 02062D9F
	v_cndmask_b32_e64 v40, v19, v21, s[40:41]                  // 00000000BE38: D1000028 00A22B13
	v_perm_b32 v151, v40, v39, s52                             // 00000000BE40: D1ED0097 00D24F28
	ds_write_b64 v13, v[144:145] offset:4096                   // 00000000BE48: D89A1000 0000900D
	ds_write_b64 v13, v[146:147] offset:6144                   // 00000000BE50: D89A1800 0000920D
	ds_write_b64 v13, v[148:149] offset:8192                   // 00000000BE58: D89A2000 0000940D
	ds_write_b64 v13, v[150:151] offset:10240                  // 00000000BE60: D89A2800 0000960D
	s_waitcnt lgkmcnt(0)                                       // 00000000BE68: BF8CC07F
	s_barrier                                                  // 00000000BE6C: BF8A0000
	ds_read_b64 v[144:145], v12 offset:4096                    // 00000000BE70: D8EC1000 9000000C
	ds_read_b64 v[146:147], v12 offset:4224                    // 00000000BE78: D8EC1080 9200000C
	ds_read_b64 v[148:149], v12 offset:5120                    // 00000000BE80: D8EC1400 9400000C
	ds_read_b64 v[150:151], v12 offset:5248                    // 00000000BE88: D8EC1480 9600000C
	ds_read_b64 v[152:153], v12 offset:6144                    // 00000000BE90: D8EC1800 9800000C
	ds_read_b64 v[154:155], v12 offset:6272                    // 00000000BE98: D8EC1880 9A00000C
	ds_read_b64 v[156:157], v12 offset:7168                    // 00000000BEA0: D8EC1C00 9C00000C
	ds_read_b64 v[158:159], v12 offset:7296                    // 00000000BEA8: D8EC1C80 9E00000C
	ds_read_b64 v[160:161], v12 offset:8192                    // 00000000BEB0: D8EC2000 A000000C
	ds_read_b64 v[162:163], v12 offset:8320                    // 00000000BEB8: D8EC2080 A200000C
	ds_read_b64 v[164:165], v12 offset:9216                    // 00000000BEC0: D8EC2400 A400000C
	ds_read_b64 v[166:167], v12 offset:9344                    // 00000000BEC8: D8EC2480 A600000C
	ds_read_b64 v[168:169], v12 offset:10240                   // 00000000BED0: D8EC2800 A800000C
	ds_read_b64 v[170:171], v12 offset:10368                   // 00000000BED8: D8EC2880 AA00000C
	ds_read_b64 v[172:173], v12 offset:11264                   // 00000000BEE0: D8EC2C00 AC00000C
	ds_read_b64 v[174:175], v12 offset:11392                   // 00000000BEE8: D8EC2C80 AE00000C
	s_waitcnt lgkmcnt(0)                                       // 00000000BEF0: BF8CC07F
	v_mul_f32_e32 v176, v51, v176                              // 00000000BEF4: 0B616133
	v_mul_f32_e32 v177, v51, v177                              // 00000000BEF8: 0B636333
	v_mul_f32_e32 v178, v51, v178                              // 00000000BEFC: 0B656533
	v_mul_f32_e32 v179, v51, v179                              // 00000000BF00: 0B676733
	v_mul_f32_e32 v180, v51, v180                              // 00000000BF04: 0B696933
	v_mul_f32_e32 v181, v51, v181                              // 00000000BF08: 0B6B6B33
	v_mul_f32_e32 v182, v51, v182                              // 00000000BF0C: 0B6D6D33
	v_mul_f32_e32 v183, v51, v183                              // 00000000BF10: 0B6F6F33
	v_mul_f32_e32 v184, v52, v184                              // 00000000BF14: 0B717134
	v_mul_f32_e32 v185, v52, v185                              // 00000000BF18: 0B737334
	v_mul_f32_e32 v186, v52, v186                              // 00000000BF1C: 0B757534
	v_mul_f32_e32 v187, v52, v187                              // 00000000BF20: 0B777734
	v_mul_f32_e32 v188, v52, v188                              // 00000000BF24: 0B797934
	v_mul_f32_e32 v189, v52, v189                              // 00000000BF28: 0B7B7B34
	v_mul_f32_e32 v190, v52, v190                              // 00000000BF2C: 0B7D7D34
	v_mul_f32_e32 v191, v52, v191                              // 00000000BF30: 0B7F7F34
	s_waitcnt vmcnt(24)                                        // 00000000BF34: BF8C4F78
	v_mfma_f32_16x16x16_bf16 v[176:179], a[128:129], v[112:113], v[176:179]// 00000000BF38: D3E100B0 0EC2E180
	v_mfma_f32_16x16x16_bf16 v[176:179], a[130:131], v[114:115], v[176:179]// 00000000BF40: D3E100B0 0EC2E582
	buffer_load_dwordx4 a[224:227], v200, s[20:23], 0 offen offset:1024// 00000000BF48: E05C1400 8085E0C8
	v_mfma_f32_16x16x16_bf16 v[176:179], a[132:133], v[116:117], v[176:179]// 00000000BF50: D3E100B0 0EC2E984
	v_mfma_f32_16x16x16_bf16 v[176:179], a[134:135], v[118:119], v[176:179]// 00000000BF58: D3E100B0 0EC2ED86
	v_mfma_f32_16x16x16_bf16 v[176:179], a[136:137], v[120:121], v[176:179]// 00000000BF60: D3E100B0 0EC2F188
	v_mfma_f32_16x16x16_bf16 v[176:179], a[138:139], v[122:123], v[176:179]// 00000000BF68: D3E100B0 0EC2F58A
	buffer_load_dwordx4 a[228:231], v201, s[20:23], 0 offen offset:1024// 00000000BF70: E05C1400 8085E4C9
	v_mfma_f32_16x16x16_bf16 v[176:179], a[140:141], v[124:125], v[176:179]// 00000000BF78: D3E100B0 0EC2F98C
	v_mfma_f32_16x16x16_bf16 v[176:179], a[142:143], v[126:127], v[176:179]// 00000000BF80: D3E100B0 0EC2FD8E
	v_mfma_f32_16x16x16_bf16 v[176:179], a[144:145], v[128:129], v[176:179]// 00000000BF88: D3E100B0 0EC30190
	v_mfma_f32_16x16x16_bf16 v[176:179], a[146:147], v[130:131], v[176:179]// 00000000BF90: D3E100B0 0EC30592
	buffer_load_dwordx4 a[232:235], v202, s[20:23], 0 offen offset:1024// 00000000BF98: E05C1400 8085E8CA
	v_mfma_f32_16x16x16_bf16 v[176:179], a[148:149], v[132:133], v[176:179]// 00000000BFA0: D3E100B0 0EC30994
	v_mfma_f32_16x16x16_bf16 v[176:179], a[150:151], v[134:135], v[176:179]// 00000000BFA8: D3E100B0 0EC30D96
	v_mfma_f32_16x16x16_bf16 v[176:179], a[152:153], v[136:137], v[176:179]// 00000000BFB0: D3E100B0 0EC31198
	v_mfma_f32_16x16x16_bf16 v[176:179], a[154:155], v[138:139], v[176:179]// 00000000BFB8: D3E100B0 0EC3159A
	buffer_load_dwordx4 a[236:239], v203, s[20:23], 0 offen offset:1024// 00000000BFC0: E05C1400 8085ECCB
	v_mfma_f32_16x16x16_bf16 v[176:179], a[156:157], v[140:141], v[176:179]// 00000000BFC8: D3E100B0 0EC3199C
	v_mfma_f32_16x16x16_bf16 v[176:179], a[158:159], v[142:143], v[176:179]// 00000000BFD0: D3E100B0 0EC31D9E
	v_mfma_f32_16x16x16_bf16 v[180:183], a[160:161], v[112:113], v[180:183]// 00000000BFD8: D3E100B4 0ED2E1A0
	v_mfma_f32_16x16x16_bf16 v[180:183], a[162:163], v[114:115], v[180:183]// 00000000BFE0: D3E100B4 0ED2E5A2
	buffer_load_dwordx4 a[240:243], v204, s[20:23], 0 offen offset:1024// 00000000BFE8: E05C1400 8085F0CC
	v_mfma_f32_16x16x16_bf16 v[180:183], a[164:165], v[116:117], v[180:183]// 00000000BFF0: D3E100B4 0ED2E9A4
	v_mfma_f32_16x16x16_bf16 v[180:183], a[166:167], v[118:119], v[180:183]// 00000000BFF8: D3E100B4 0ED2EDA6
	v_mfma_f32_16x16x16_bf16 v[180:183], a[168:169], v[120:121], v[180:183]// 00000000C000: D3E100B4 0ED2F1A8
	v_mfma_f32_16x16x16_bf16 v[180:183], a[170:171], v[122:123], v[180:183]// 00000000C008: D3E100B4 0ED2F5AA
	buffer_load_dwordx4 a[244:247], v205, s[20:23], 0 offen offset:1024// 00000000C010: E05C1400 8085F4CD
	v_mfma_f32_16x16x16_bf16 v[180:183], a[172:173], v[124:125], v[180:183]// 00000000C018: D3E100B4 0ED2F9AC
	v_mfma_f32_16x16x16_bf16 v[180:183], a[174:175], v[126:127], v[180:183]// 00000000C020: D3E100B4 0ED2FDAE
	v_mfma_f32_16x16x16_bf16 v[180:183], a[176:177], v[128:129], v[180:183]// 00000000C028: D3E100B4 0ED301B0
	v_mfma_f32_16x16x16_bf16 v[180:183], a[178:179], v[130:131], v[180:183]// 00000000C030: D3E100B4 0ED305B2
	buffer_load_dwordx4 a[248:251], v206, s[20:23], 0 offen offset:1024// 00000000C038: E05C1400 8085F8CE
	v_mfma_f32_16x16x16_bf16 v[180:183], a[180:181], v[132:133], v[180:183]// 00000000C040: D3E100B4 0ED309B4
	v_mfma_f32_16x16x16_bf16 v[180:183], a[182:183], v[134:135], v[180:183]// 00000000C048: D3E100B4 0ED30DB6
	v_mfma_f32_16x16x16_bf16 v[180:183], a[184:185], v[136:137], v[180:183]// 00000000C050: D3E100B4 0ED311B8
	v_mfma_f32_16x16x16_bf16 v[180:183], a[186:187], v[138:139], v[180:183]// 00000000C058: D3E100B4 0ED315BA
	buffer_load_dwordx4 a[252:255], v207, s[20:23], 0 offen offset:1024// 00000000C060: E05C1400 8085FCCF
	v_mfma_f32_16x16x16_bf16 v[180:183], a[188:189], v[140:141], v[180:183]// 00000000C068: D3E100B4 0ED319BC
	v_mfma_f32_16x16x16_bf16 v[180:183], a[190:191], v[142:143], v[180:183]// 00000000C070: D3E100B4 0ED31DBE
	v_mfma_f32_16x16x16_bf16 v[184:187], a[128:129], v[144:145], v[184:187]// 00000000C078: D3E100B8 0EE32180
	v_mfma_f32_16x16x16_bf16 v[184:187], a[130:131], v[146:147], v[184:187]// 00000000C080: D3E100B8 0EE32582
	v_mfma_f32_16x16x16_bf16 v[184:187], a[132:133], v[148:149], v[184:187]// 00000000C088: D3E100B8 0EE32984
	v_mfma_f32_16x16x16_bf16 v[184:187], a[134:135], v[150:151], v[184:187]// 00000000C090: D3E100B8 0EE32D86
	v_mfma_f32_16x16x16_bf16 v[184:187], a[136:137], v[152:153], v[184:187]// 00000000C098: D3E100B8 0EE33188
	v_mfma_f32_16x16x16_bf16 v[184:187], a[138:139], v[154:155], v[184:187]// 00000000C0A0: D3E100B8 0EE3358A
	v_mfma_f32_16x16x16_bf16 v[184:187], a[140:141], v[156:157], v[184:187]// 00000000C0A8: D3E100B8 0EE3398C
	v_mfma_f32_16x16x16_bf16 v[184:187], a[142:143], v[158:159], v[184:187]// 00000000C0B0: D3E100B8 0EE33D8E
	v_mfma_f32_16x16x16_bf16 v[184:187], a[144:145], v[160:161], v[184:187]// 00000000C0B8: D3E100B8 0EE34190
	v_mfma_f32_16x16x16_bf16 v[184:187], a[146:147], v[162:163], v[184:187]// 00000000C0C0: D3E100B8 0EE34592
	v_mfma_f32_16x16x16_bf16 v[184:187], a[148:149], v[164:165], v[184:187]// 00000000C0C8: D3E100B8 0EE34994
	v_mfma_f32_16x16x16_bf16 v[184:187], a[150:151], v[166:167], v[184:187]// 00000000C0D0: D3E100B8 0EE34D96
	v_mfma_f32_16x16x16_bf16 v[184:187], a[152:153], v[168:169], v[184:187]// 00000000C0D8: D3E100B8 0EE35198
	v_mfma_f32_16x16x16_bf16 v[184:187], a[154:155], v[170:171], v[184:187]// 00000000C0E0: D3E100B8 0EE3559A
	v_mfma_f32_16x16x16_bf16 v[184:187], a[156:157], v[172:173], v[184:187]// 00000000C0E8: D3E100B8 0EE3599C
	v_mfma_f32_16x16x16_bf16 v[184:187], a[158:159], v[174:175], v[184:187]// 00000000C0F0: D3E100B8 0EE35D9E
	v_mfma_f32_16x16x16_bf16 v[188:191], a[160:161], v[144:145], v[188:191]// 00000000C0F8: D3E100BC 0EF321A0
	v_mfma_f32_16x16x16_bf16 v[188:191], a[162:163], v[146:147], v[188:191]// 00000000C100: D3E100BC 0EF325A2
	v_mfma_f32_16x16x16_bf16 v[188:191], a[164:165], v[148:149], v[188:191]// 00000000C108: D3E100BC 0EF329A4
	v_mfma_f32_16x16x16_bf16 v[188:191], a[166:167], v[150:151], v[188:191]// 00000000C110: D3E100BC 0EF32DA6
	v_mfma_f32_16x16x16_bf16 v[188:191], a[168:169], v[152:153], v[188:191]// 00000000C118: D3E100BC 0EF331A8
	v_mfma_f32_16x16x16_bf16 v[188:191], a[170:171], v[154:155], v[188:191]// 00000000C120: D3E100BC 0EF335AA
	v_mfma_f32_16x16x16_bf16 v[188:191], a[172:173], v[156:157], v[188:191]// 00000000C128: D3E100BC 0EF339AC
	v_mfma_f32_16x16x16_bf16 v[188:191], a[174:175], v[158:159], v[188:191]// 00000000C130: D3E100BC 0EF33DAE
	v_mfma_f32_16x16x16_bf16 v[188:191], a[176:177], v[160:161], v[188:191]// 00000000C138: D3E100BC 0EF341B0
	v_mfma_f32_16x16x16_bf16 v[188:191], a[178:179], v[162:163], v[188:191]// 00000000C140: D3E100BC 0EF345B2
	v_mfma_f32_16x16x16_bf16 v[188:191], a[180:181], v[164:165], v[188:191]// 00000000C148: D3E100BC 0EF349B4
	v_mfma_f32_16x16x16_bf16 v[188:191], a[182:183], v[166:167], v[188:191]// 00000000C150: D3E100BC 0EF34DB6
	v_mfma_f32_16x16x16_bf16 v[188:191], a[184:185], v[168:169], v[188:191]// 00000000C158: D3E100BC 0EF351B8
	v_mfma_f32_16x16x16_bf16 v[188:191], a[186:187], v[170:171], v[188:191]// 00000000C160: D3E100BC 0EF355BA
	v_mfma_f32_16x16x16_bf16 v[188:191], a[188:189], v[172:173], v[188:191]// 00000000C168: D3E100BC 0EF359BC
	v_mfma_f32_16x16x16_bf16 v[188:191], a[190:191], v[174:175], v[188:191]// 00000000C170: D3E100BC 0EF35DBE
	s_lshr_b32 s60, s70, 4                                     // 00000000C178: 8F3C8446
	s_add_u32 s60, 48, s60                                     // 00000000C17C: 803C3CB0
	s_cmp_ge_u32 s60, s73                                      // 00000000C180: BF09493C
	s_cselect_b32 s56, 0, s56                                  // 00000000C184: 85383880
	v_mul_u32_u24_dpp v39, v17, v54 row_newbcast:0 row_mask:0xf bank_mask:0xf// 00000000C188: 104E6CFA FF015011
	v_mul_u32_u24_dpp v40, v17, v54 row_newbcast:4 row_mask:0xf bank_mask:0xf// 00000000C190: 10506CFA FF015411
	v_mul_u32_u24_dpp v41, v17, v54 row_newbcast:8 row_mask:0xf bank_mask:0xf// 00000000C198: 10526CFA FF015811
	v_mul_u32_u24_dpp v42, v17, v54 row_newbcast:12 row_mask:0xf bank_mask:0xf// 00000000C1A0: 10546CFA FF015C11
	v_add_u32_e32 v23, v39, v6                                 // 00000000C1A8: 682E0D27
	v_add_u32_e32 v24, v40, v6                                 // 00000000C1AC: 68300D28
	v_add_u32_e32 v25, v41, v6                                 // 00000000C1B0: 68320D29
	v_add_u32_e32 v26, v42, v6                                 // 00000000C1B4: 68340D2A
	v_mul_u32_u24_dpp v39, v17, v54 row_newbcast:1 row_mask:0xf bank_mask:0xf// 00000000C1B8: 104E6CFA FF015111
	v_mul_u32_u24_dpp v40, v17, v54 row_newbcast:2 row_mask:0xf bank_mask:0xf// 00000000C1C0: 10506CFA FF015211
	v_mul_u32_u24_dpp v41, v17, v54 row_newbcast:5 row_mask:0xf bank_mask:0xf// 00000000C1C8: 10526CFA FF015511
	v_mul_u32_u24_dpp v42, v17, v54 row_newbcast:6 row_mask:0xf bank_mask:0xf// 00000000C1D0: 10546CFA FF015611
	v_add_u32_e32 v192, v39, v7                                // 00000000C1D8: 69800F27
	v_add_u32_e32 v193, v40, v7                                // 00000000C1DC: 69820F28
	v_add_u32_e32 v194, v41, v7                                // 00000000C1E0: 69840F29
	v_add_u32_e32 v195, v42, v7                                // 00000000C1E4: 69860F2A
	v_mul_u32_u24_dpp v39, v17, v54 row_newbcast:9 row_mask:0xf bank_mask:0xf// 00000000C1E8: 104E6CFA FF015911
	v_mul_u32_u24_dpp v40, v17, v54 row_newbcast:10 row_mask:0xf bank_mask:0xf// 00000000C1F0: 10506CFA FF015A11
	v_mul_u32_u24_dpp v41, v17, v54 row_newbcast:13 row_mask:0xf bank_mask:0xf// 00000000C1F8: 10526CFA FF015D11
	v_mul_u32_u24_dpp v42, v17, v54 row_newbcast:7 row_mask:0xf bank_mask:0xf// 00000000C200: 10546CFA FF015711
	v_add_u32_e32 v196, v39, v7                                // 00000000C208: 69880F27
	v_add_u32_e32 v197, v40, v7                                // 00000000C20C: 698A0F28
	v_add_u32_e32 v198, v41, v7                                // 00000000C210: 698C0F29
	v_add_u32_e32 v199, v42, v7                                // 00000000C214: 698E0F2A
	v_add_u32_e32 v1, s56, v1                                  // 00000000C218: 68020238
	s_addk_i32 s70, 0x100                                      // 00000000C21C: B7460100
	s_cmp_lt_i32 s70, s71                                      // 00000000C220: BF044746
	s_cbranch_scc0 label_2CD7                                  // 00000000C224: BF8404CC
	s_waitcnt vmcnt(16) lgkmcnt(0)                             // 00000000C228: BF8C4070
	v_mfma_f32_16x16x16_bf16 v[112:115], a[64:65], v[80:81], 0 // 00000000C22C: D3E10070 0A02A140
	v_mfma_f32_16x16x16_bf16 v[112:115], a[66:67], v[82:83], v[112:115]// 00000000C234: D3E10070 0DC2A542
	buffer_load_dwordx4 a[0:3], v23, s[16:19], 0 offen         // 00000000C23C: E05C1000 80840017
	v_mfma_f32_16x16x16_bf16 v[112:115], a[68:69], v[84:85], v[112:115]// 00000000C244: D3E10070 0DC2A944
	v_mfma_f32_16x16x16_bf16 v[112:115], a[70:71], v[86:87], v[112:115]// 00000000C24C: D3E10070 0DC2AD46
	buffer_load_dword v18, v1, s[24:27], 0 offen               // 00000000C254: E0501000 80061201
	v_mfma_f32_16x16x16_bf16 v[112:115], a[72:73], v[88:89], v[112:115]// 00000000C25C: D3E10070 0DC2B148
	v_mfma_f32_16x16x16_bf16 v[112:115], a[74:75], v[90:91], v[112:115]// 00000000C264: D3E10070 0DC2B54A
	buffer_load_dwordx4 a[4:7], v23, s[16:19], 0 offen offset:1024// 00000000C26C: E05C1400 80840417
	v_mfma_f32_16x16x16_bf16 v[112:115], a[76:77], v[92:93], v[112:115]// 00000000C274: D3E10070 0DC2B94C
	v_mfma_f32_16x16x16_bf16 v[112:115], a[78:79], v[94:95], v[112:115]// 00000000C27C: D3E10070 0DC2BD4E
	v_mfma_f32_16x16x16_bf16 v[116:119], a[80:81], v[80:81], 0 // 00000000C284: D3E10074 0A02A150
	v_mfma_f32_16x16x16_bf16 v[116:119], a[82:83], v[82:83], v[116:119]// 00000000C28C: D3E10074 0DD2A552
	buffer_load_dwordx4 a[8:11], v23, s[16:19], 0 offen offset:2048// 00000000C294: E05C1800 80840817
	v_mfma_f32_16x16x16_bf16 v[116:119], a[84:85], v[84:85], v[116:119]// 00000000C29C: D3E10074 0DD2A954
	v_mfma_f32_16x16x16_bf16 v[116:119], a[86:87], v[86:87], v[116:119]// 00000000C2A4: D3E10074 0DD2AD56
	v_mfma_f32_16x16x16_bf16 v[116:119], a[88:89], v[88:89], v[116:119]// 00000000C2AC: D3E10074 0DD2B158
	v_mfma_f32_16x16x16_bf16 v[116:119], a[90:91], v[90:91], v[116:119]// 00000000C2B4: D3E10074 0DD2B55A
	buffer_load_dwordx4 a[12:15], v23, s[16:19], 0 offen offset:3072// 00000000C2BC: E05C1C00 80840C17
	v_mfma_f32_16x16x16_bf16 v[116:119], a[92:93], v[92:93], v[116:119]// 00000000C2C4: D3E10074 0DD2B95C
	v_mfma_f32_16x16x16_bf16 v[116:119], a[94:95], v[94:95], v[116:119]// 00000000C2CC: D3E10074 0DD2BD5E
	v_mfma_f32_16x16x16_bf16 v[120:123], a[96:97], v[80:81], 0 // 00000000C2D4: D3E10078 0A02A160
	v_mfma_f32_16x16x16_bf16 v[120:123], a[98:99], v[82:83], v[120:123]// 00000000C2DC: D3E10078 0DE2A562
	buffer_load_dwordx4 a[16:19], v24, s[16:19], 0 offen       // 00000000C2E4: E05C1000 80841018
	v_mfma_f32_16x16x16_bf16 v[120:123], a[100:101], v[84:85], v[120:123]// 00000000C2EC: D3E10078 0DE2A964
	v_mfma_f32_16x16x16_bf16 v[120:123], a[102:103], v[86:87], v[120:123]// 00000000C2F4: D3E10078 0DE2AD66
	v_mfma_f32_16x16x16_bf16 v[120:123], a[104:105], v[88:89], v[120:123]// 00000000C2FC: D3E10078 0DE2B168
	v_mfma_f32_16x16x16_bf16 v[120:123], a[106:107], v[90:91], v[120:123]// 00000000C304: D3E10078 0DE2B56A
	buffer_load_dwordx4 a[20:23], v24, s[16:19], 0 offen offset:1024// 00000000C30C: E05C1400 80841418
	v_mfma_f32_16x16x16_bf16 v[120:123], a[108:109], v[92:93], v[120:123]// 00000000C314: D3E10078 0DE2B96C
	v_mfma_f32_16x16x16_bf16 v[120:123], a[110:111], v[94:95], v[120:123]// 00000000C31C: D3E10078 0DE2BD6E
	v_mfma_f32_16x16x16_bf16 v[124:127], a[112:113], v[80:81], 0// 00000000C324: D3E1007C 0A02A170
	v_mfma_f32_16x16x16_bf16 v[124:127], a[114:115], v[82:83], v[124:127]// 00000000C32C: D3E1007C 0DF2A572
	buffer_load_dwordx4 a[24:27], v24, s[16:19], 0 offen offset:2048// 00000000C334: E05C1800 80841818
	v_mfma_f32_16x16x16_bf16 v[124:127], a[116:117], v[84:85], v[124:127]// 00000000C33C: D3E1007C 0DF2A974
	v_mfma_f32_16x16x16_bf16 v[124:127], a[118:119], v[86:87], v[124:127]// 00000000C344: D3E1007C 0DF2AD76
	v_mfma_f32_16x16x16_bf16 v[124:127], a[120:121], v[88:89], v[124:127]// 00000000C34C: D3E1007C 0DF2B178
	v_mfma_f32_16x16x16_bf16 v[124:127], a[122:123], v[90:91], v[124:127]// 00000000C354: D3E1007C 0DF2B57A
	buffer_load_dwordx4 a[28:31], v24, s[16:19], 0 offen offset:3072// 00000000C35C: E05C1C00 80841C18
	v_mfma_f32_16x16x16_bf16 v[124:127], a[124:125], v[92:93], v[124:127]// 00000000C364: D3E1007C 0DF2B97C
	v_mfma_f32_16x16x16_bf16 v[124:127], a[126:127], v[94:95], v[124:127]// 00000000C36C: D3E1007C 0DF2BD7E
	s_cmp_le_i32 s90, s89                                      // 00000000C374: BF05595A
	s_cbranch_scc1 label_28D3                                  // 00000000C378: BF850073
	v_mov_b32_e32 v55, 0xff800000                              // 00000000C37C: 7E6E02FF FF800000
	s_mov_b32 s60, s90                                         // 00000000C384: BEBC005A
	s_add_u32 s61, s89, 0xff                                   // 00000000C388: 803DFF59 000000FF
	v_mov_b32_e32 v39, s61                                     // 00000000C390: 7E4E023D
	v_lshrrev_b32_e32 v31, 4, v0                               // 00000000C394: 203E0084
	v_mul_i32_i24_e32 v31, 4, v31                              // 00000000C398: 0C3E3E84
	v_add_u32_e32 v31, s60, v31                                // 00000000C39C: 683E3E3C
	v_and_b32_e32 v40, 15, v0                                  // 00000000C3A0: 2650008F
	v_lshrrev_b32_e32 v40, 3, v40                              // 00000000C3A4: 20505083
	s_mov_b32 s61, 0                                           // 00000000C3A8: BEBD0080
	s_mul_i32 s60, 16, s7                                      // 00000000C3AC: 923C0790
	v_add_u32_e32 v40, s61, v40                                // 00000000C3B0: 6850503D
	v_sub_u32_e32 v31, v31, v40                                // 00000000C3B4: 6A3E511F
	v_add_u32_e32 v31, s60, v31                                // 00000000C3B8: 683E3E3C
	v_add_u32_e32 v32, 1, v31                                  // 00000000C3BC: 68403E81
	v_add_u32_e32 v33, 2, v31                                  // 00000000C3C0: 68423E82
	v_add_u32_e32 v34, 3, v31                                  // 00000000C3C4: 68443E83
	v_cmp_le_u32_e64 s[40:41], v31, v39                        // 00000000C3C8: D0CB0028 00024F1F
	v_add_u32_e32 v31, 64, v31                                 // 00000000C3D0: 683E3EC0
	s_nop 0                                                    // 00000000C3D4: BF800000
	v_cndmask_b32_e64 v112, v55, v112, s[40:41]                // 00000000C3D8: D1000070 00A2E137
	v_cmp_le_u32_e64 s[40:41], v32, v39                        // 00000000C3E0: D0CB0028 00024F20
	v_add_u32_e32 v32, 64, v32                                 // 00000000C3E8: 684040C0
	s_nop 0                                                    // 00000000C3EC: BF800000
	v_cndmask_b32_e64 v113, v55, v113, s[40:41]                // 00000000C3F0: D1000071 00A2E337
	v_cmp_le_u32_e64 s[40:41], v33, v39                        // 00000000C3F8: D0CB0028 00024F21
	v_add_u32_e32 v33, 64, v33                                 // 00000000C400: 684242C0
	s_nop 0                                                    // 00000000C404: BF800000
	v_cndmask_b32_e64 v114, v55, v114, s[40:41]                // 00000000C408: D1000072 00A2E537
	v_cmp_le_u32_e64 s[40:41], v34, v39                        // 00000000C410: D0CB0028 00024F22
	v_add_u32_e32 v34, 64, v34                                 // 00000000C418: 684444C0
	s_nop 0                                                    // 00000000C41C: BF800000
	v_cndmask_b32_e64 v115, v55, v115, s[40:41]                // 00000000C420: D1000073 00A2E737
	v_cmp_le_u32_e64 s[40:41], v31, v39                        // 00000000C428: D0CB0028 00024F1F
	v_add_u32_e32 v31, 64, v31                                 // 00000000C430: 683E3EC0
	s_nop 0                                                    // 00000000C434: BF800000
	v_cndmask_b32_e64 v116, v55, v116, s[40:41]                // 00000000C438: D1000074 00A2E937
	v_cmp_le_u32_e64 s[40:41], v32, v39                        // 00000000C440: D0CB0028 00024F20
	v_add_u32_e32 v32, 64, v32                                 // 00000000C448: 684040C0
	s_nop 0                                                    // 00000000C44C: BF800000
	v_cndmask_b32_e64 v117, v55, v117, s[40:41]                // 00000000C450: D1000075 00A2EB37
	v_cmp_le_u32_e64 s[40:41], v33, v39                        // 00000000C458: D0CB0028 00024F21
	v_add_u32_e32 v33, 64, v33                                 // 00000000C460: 684242C0
	s_nop 0                                                    // 00000000C464: BF800000
	v_cndmask_b32_e64 v118, v55, v118, s[40:41]                // 00000000C468: D1000076 00A2ED37
	v_cmp_le_u32_e64 s[40:41], v34, v39                        // 00000000C470: D0CB0028 00024F22
	v_add_u32_e32 v34, 64, v34                                 // 00000000C478: 684444C0
	s_nop 0                                                    // 00000000C47C: BF800000
	v_cndmask_b32_e64 v119, v55, v119, s[40:41]                // 00000000C480: D1000077 00A2EF37
	v_cmp_le_u32_e64 s[40:41], v31, v39                        // 00000000C488: D0CB0028 00024F1F
	v_add_u32_e32 v31, 64, v31                                 // 00000000C490: 683E3EC0
	s_nop 0                                                    // 00000000C494: BF800000
	v_cndmask_b32_e64 v120, v55, v120, s[40:41]                // 00000000C498: D1000078 00A2F137
	v_cmp_le_u32_e64 s[40:41], v32, v39                        // 00000000C4A0: D0CB0028 00024F20
	v_add_u32_e32 v32, 64, v32                                 // 00000000C4A8: 684040C0
	s_nop 0                                                    // 00000000C4AC: BF800000
	v_cndmask_b32_e64 v121, v55, v121, s[40:41]                // 00000000C4B0: D1000079 00A2F337
	v_cmp_le_u32_e64 s[40:41], v33, v39                        // 00000000C4B8: D0CB0028 00024F21
	v_add_u32_e32 v33, 64, v33                                 // 00000000C4C0: 684242C0
	s_nop 0                                                    // 00000000C4C4: BF800000
	v_cndmask_b32_e64 v122, v55, v122, s[40:41]                // 00000000C4C8: D100007A 00A2F537
	v_cmp_le_u32_e64 s[40:41], v34, v39                        // 00000000C4D0: D0CB0028 00024F22
	v_add_u32_e32 v34, 64, v34                                 // 00000000C4D8: 684444C0
	s_nop 0                                                    // 00000000C4DC: BF800000
	v_cndmask_b32_e64 v123, v55, v123, s[40:41]                // 00000000C4E0: D100007B 00A2F737
	v_cmp_le_u32_e64 s[40:41], v31, v39                        // 00000000C4E8: D0CB0028 00024F1F
	v_add_u32_e32 v31, 64, v31                                 // 00000000C4F0: 683E3EC0
	s_nop 0                                                    // 00000000C4F4: BF800000
	v_cndmask_b32_e64 v124, v55, v124, s[40:41]                // 00000000C4F8: D100007C 00A2F937
	v_cmp_le_u32_e64 s[40:41], v32, v39                        // 00000000C500: D0CB0028 00024F20
	v_add_u32_e32 v32, 64, v32                                 // 00000000C508: 684040C0
	s_nop 0                                                    // 00000000C50C: BF800000
	v_cndmask_b32_e64 v125, v55, v125, s[40:41]                // 00000000C510: D100007D 00A2FB37
	v_cmp_le_u32_e64 s[40:41], v33, v39                        // 00000000C518: D0CB0028 00024F21
	v_add_u32_e32 v33, 64, v33                                 // 00000000C520: 684242C0
	s_nop 0                                                    // 00000000C524: BF800000
	v_cndmask_b32_e64 v126, v55, v126, s[40:41]                // 00000000C528: D100007E 00A2FD37
	v_cmp_le_u32_e64 s[40:41], v34, v39                        // 00000000C530: D0CB0028 00024F22
	v_add_u32_e32 v34, 64, v34                                 // 00000000C538: 684444C0
	s_nop 0                                                    // 00000000C53C: BF800000
	v_cndmask_b32_e64 v127, v55, v127, s[40:41]                // 00000000C540: D100007F 00A2FF37

000000000000c548 <label_28D3>:
	s_waitcnt vmcnt(16) lgkmcnt(0)                             // 00000000C548: BF8C4070
	v_mfma_f32_16x16x16_bf16 v[144:147], a[64:65], v[96:97], 0 // 00000000C54C: D3E10090 0A02C140
	v_mfma_f32_16x16x16_bf16 v[144:147], a[66:67], v[98:99], v[144:147]// 00000000C554: D3E10090 0E42C542
	v_mfma_f32_16x16x16_bf16 v[144:147], a[68:69], v[100:101], v[144:147]// 00000000C55C: D3E10090 0E42C944
	v_mfma_f32_16x16x16_bf16 v[144:147], a[70:71], v[102:103], v[144:147]// 00000000C564: D3E10090 0E42CD46
	v_mfma_f32_16x16x16_bf16 v[144:147], a[72:73], v[104:105], v[144:147]// 00000000C56C: D3E10090 0E42D148
	v_mfma_f32_16x16x16_bf16 v[144:147], a[74:75], v[106:107], v[144:147]// 00000000C574: D3E10090 0E42D54A
	v_mfma_f32_16x16x16_bf16 v[144:147], a[76:77], v[108:109], v[144:147]// 00000000C57C: D3E10090 0E42D94C
	v_mfma_f32_16x16x16_bf16 v[144:147], a[78:79], v[110:111], v[144:147]// 00000000C584: D3E10090 0E42DD4E
	v_mfma_f32_16x16x16_bf16 v[148:151], a[80:81], v[96:97], 0 // 00000000C58C: D3E10094 0A02C150
	v_mfma_f32_16x16x16_bf16 v[148:151], a[82:83], v[98:99], v[148:151]// 00000000C594: D3E10094 0E52C552
	v_mfma_f32_16x16x16_bf16 v[148:151], a[84:85], v[100:101], v[148:151]// 00000000C59C: D3E10094 0E52C954
	v_mfma_f32_16x16x16_bf16 v[148:151], a[86:87], v[102:103], v[148:151]// 00000000C5A4: D3E10094 0E52CD56
	v_mfma_f32_16x16x16_bf16 v[148:151], a[88:89], v[104:105], v[148:151]// 00000000C5AC: D3E10094 0E52D158
	v_mfma_f32_16x16x16_bf16 v[148:151], a[90:91], v[106:107], v[148:151]// 00000000C5B4: D3E10094 0E52D55A
	v_mfma_f32_16x16x16_bf16 v[148:151], a[92:93], v[108:109], v[148:151]// 00000000C5BC: D3E10094 0E52D95C
	v_mfma_f32_16x16x16_bf16 v[148:151], a[94:95], v[110:111], v[148:151]// 00000000C5C4: D3E10094 0E52DD5E
	v_mfma_f32_16x16x16_bf16 v[152:155], a[96:97], v[96:97], 0 // 00000000C5CC: D3E10098 0A02C160
	v_mfma_f32_16x16x16_bf16 v[152:155], a[98:99], v[98:99], v[152:155]// 00000000C5D4: D3E10098 0E62C562
	v_mfma_f32_16x16x16_bf16 v[152:155], a[100:101], v[100:101], v[152:155]// 00000000C5DC: D3E10098 0E62C964
	v_mfma_f32_16x16x16_bf16 v[152:155], a[102:103], v[102:103], v[152:155]// 00000000C5E4: D3E10098 0E62CD66
	v_mfma_f32_16x16x16_bf16 v[152:155], a[104:105], v[104:105], v[152:155]// 00000000C5EC: D3E10098 0E62D168
	v_mfma_f32_16x16x16_bf16 v[152:155], a[106:107], v[106:107], v[152:155]// 00000000C5F4: D3E10098 0E62D56A
	v_mfma_f32_16x16x16_bf16 v[152:155], a[108:109], v[108:109], v[152:155]// 00000000C5FC: D3E10098 0E62D96C
	v_mfma_f32_16x16x16_bf16 v[152:155], a[110:111], v[110:111], v[152:155]// 00000000C604: D3E10098 0E62DD6E
	v_mfma_f32_16x16x16_bf16 v[156:159], a[112:113], v[96:97], 0// 00000000C60C: D3E1009C 0A02C170
	v_mfma_f32_16x16x16_bf16 v[156:159], a[114:115], v[98:99], v[156:159]// 00000000C614: D3E1009C 0E72C572
	v_mfma_f32_16x16x16_bf16 v[156:159], a[116:117], v[100:101], v[156:159]// 00000000C61C: D3E1009C 0E72C974
	v_mfma_f32_16x16x16_bf16 v[156:159], a[118:119], v[102:103], v[156:159]// 00000000C624: D3E1009C 0E72CD76
	v_mfma_f32_16x16x16_bf16 v[156:159], a[120:121], v[104:105], v[156:159]// 00000000C62C: D3E1009C 0E72D178
	v_mfma_f32_16x16x16_bf16 v[156:159], a[122:123], v[106:107], v[156:159]// 00000000C634: D3E1009C 0E72D57A
	v_mfma_f32_16x16x16_bf16 v[156:159], a[124:125], v[108:109], v[156:159]// 00000000C63C: D3E1009C 0E72D97C
	v_mfma_f32_16x16x16_bf16 v[156:159], a[126:127], v[110:111], v[156:159]// 00000000C644: D3E1009C 0E72DD7E
	s_cmp_le_i32 s90, s89                                      // 00000000C64C: BF05595A
	s_cbranch_scc1 label_2989                                  // 00000000C650: BF850073
	v_mov_b32_e32 v55, 0xff800000                              // 00000000C654: 7E6E02FF FF800000
	s_mov_b32 s60, s90                                         // 00000000C65C: BEBC005A
	s_add_u32 s61, s89, 0xff                                   // 00000000C660: 803DFF59 000000FF
	v_mov_b32_e32 v39, s61                                     // 00000000C668: 7E4E023D
	v_lshrrev_b32_e32 v31, 4, v0                               // 00000000C66C: 203E0084
	v_mul_i32_i24_e32 v31, 4, v31                              // 00000000C670: 0C3E3E84
	v_add_u32_e32 v31, s60, v31                                // 00000000C674: 683E3E3C
	v_and_b32_e32 v40, 15, v0                                  // 00000000C678: 2650008F
	v_lshrrev_b32_e32 v40, 3, v40                              // 00000000C67C: 20505083
	s_mov_b32 s61, 2                                           // 00000000C680: BEBD0082
	s_mul_i32 s60, 16, s7                                      // 00000000C684: 923C0790
	v_add_u32_e32 v40, s61, v40                                // 00000000C688: 6850503D
	v_sub_u32_e32 v31, v31, v40                                // 00000000C68C: 6A3E511F
	v_add_u32_e32 v31, s60, v31                                // 00000000C690: 683E3E3C
	v_add_u32_e32 v32, 1, v31                                  // 00000000C694: 68403E81
	v_add_u32_e32 v33, 2, v31                                  // 00000000C698: 68423E82
	v_add_u32_e32 v34, 3, v31                                  // 00000000C69C: 68443E83
	v_cmp_le_u32_e64 s[40:41], v31, v39                        // 00000000C6A0: D0CB0028 00024F1F
	v_add_u32_e32 v31, 64, v31                                 // 00000000C6A8: 683E3EC0
	s_nop 0                                                    // 00000000C6AC: BF800000
	v_cndmask_b32_e64 v144, v55, v144, s[40:41]                // 00000000C6B0: D1000090 00A32137
	v_cmp_le_u32_e64 s[40:41], v32, v39                        // 00000000C6B8: D0CB0028 00024F20
	v_add_u32_e32 v32, 64, v32                                 // 00000000C6C0: 684040C0
	s_nop 0                                                    // 00000000C6C4: BF800000
	v_cndmask_b32_e64 v145, v55, v145, s[40:41]                // 00000000C6C8: D1000091 00A32337
	v_cmp_le_u32_e64 s[40:41], v33, v39                        // 00000000C6D0: D0CB0028 00024F21
	v_add_u32_e32 v33, 64, v33                                 // 00000000C6D8: 684242C0
	s_nop 0                                                    // 00000000C6DC: BF800000
	v_cndmask_b32_e64 v146, v55, v146, s[40:41]                // 00000000C6E0: D1000092 00A32537
	v_cmp_le_u32_e64 s[40:41], v34, v39                        // 00000000C6E8: D0CB0028 00024F22
	v_add_u32_e32 v34, 64, v34                                 // 00000000C6F0: 684444C0
	s_nop 0                                                    // 00000000C6F4: BF800000
	v_cndmask_b32_e64 v147, v55, v147, s[40:41]                // 00000000C6F8: D1000093 00A32737
	v_cmp_le_u32_e64 s[40:41], v31, v39                        // 00000000C700: D0CB0028 00024F1F
	v_add_u32_e32 v31, 64, v31                                 // 00000000C708: 683E3EC0
	s_nop 0                                                    // 00000000C70C: BF800000
	v_cndmask_b32_e64 v148, v55, v148, s[40:41]                // 00000000C710: D1000094 00A32937
	v_cmp_le_u32_e64 s[40:41], v32, v39                        // 00000000C718: D0CB0028 00024F20
	v_add_u32_e32 v32, 64, v32                                 // 00000000C720: 684040C0
	s_nop 0                                                    // 00000000C724: BF800000
	v_cndmask_b32_e64 v149, v55, v149, s[40:41]                // 00000000C728: D1000095 00A32B37
	v_cmp_le_u32_e64 s[40:41], v33, v39                        // 00000000C730: D0CB0028 00024F21
	v_add_u32_e32 v33, 64, v33                                 // 00000000C738: 684242C0
	s_nop 0                                                    // 00000000C73C: BF800000
	v_cndmask_b32_e64 v150, v55, v150, s[40:41]                // 00000000C740: D1000096 00A32D37
	v_cmp_le_u32_e64 s[40:41], v34, v39                        // 00000000C748: D0CB0028 00024F22
	v_add_u32_e32 v34, 64, v34                                 // 00000000C750: 684444C0
	s_nop 0                                                    // 00000000C754: BF800000
	v_cndmask_b32_e64 v151, v55, v151, s[40:41]                // 00000000C758: D1000097 00A32F37
	v_cmp_le_u32_e64 s[40:41], v31, v39                        // 00000000C760: D0CB0028 00024F1F
	v_add_u32_e32 v31, 64, v31                                 // 00000000C768: 683E3EC0
	s_nop 0                                                    // 00000000C76C: BF800000
	v_cndmask_b32_e64 v152, v55, v152, s[40:41]                // 00000000C770: D1000098 00A33137
	v_cmp_le_u32_e64 s[40:41], v32, v39                        // 00000000C778: D0CB0028 00024F20
	v_add_u32_e32 v32, 64, v32                                 // 00000000C780: 684040C0
	s_nop 0                                                    // 00000000C784: BF800000
	v_cndmask_b32_e64 v153, v55, v153, s[40:41]                // 00000000C788: D1000099 00A33337
	v_cmp_le_u32_e64 s[40:41], v33, v39                        // 00000000C790: D0CB0028 00024F21
	v_add_u32_e32 v33, 64, v33                                 // 00000000C798: 684242C0
	s_nop 0                                                    // 00000000C79C: BF800000
	v_cndmask_b32_e64 v154, v55, v154, s[40:41]                // 00000000C7A0: D100009A 00A33537
	v_cmp_le_u32_e64 s[40:41], v34, v39                        // 00000000C7A8: D0CB0028 00024F22
	v_add_u32_e32 v34, 64, v34                                 // 00000000C7B0: 684444C0
	s_nop 0                                                    // 00000000C7B4: BF800000
	v_cndmask_b32_e64 v155, v55, v155, s[40:41]                // 00000000C7B8: D100009B 00A33737
	v_cmp_le_u32_e64 s[40:41], v31, v39                        // 00000000C7C0: D0CB0028 00024F1F
	v_add_u32_e32 v31, 64, v31                                 // 00000000C7C8: 683E3EC0
	s_nop 0                                                    // 00000000C7CC: BF800000
	v_cndmask_b32_e64 v156, v55, v156, s[40:41]                // 00000000C7D0: D100009C 00A33937
	v_cmp_le_u32_e64 s[40:41], v32, v39                        // 00000000C7D8: D0CB0028 00024F20
	v_add_u32_e32 v32, 64, v32                                 // 00000000C7E0: 684040C0
	s_nop 0                                                    // 00000000C7E4: BF800000
	v_cndmask_b32_e64 v157, v55, v157, s[40:41]                // 00000000C7E8: D100009D 00A33B37
	v_cmp_le_u32_e64 s[40:41], v33, v39                        // 00000000C7F0: D0CB0028 00024F21
	v_add_u32_e32 v33, 64, v33                                 // 00000000C7F8: 684242C0
	s_nop 0                                                    // 00000000C7FC: BF800000
	v_cndmask_b32_e64 v158, v55, v158, s[40:41]                // 00000000C800: D100009E 00A33D37
	v_cmp_le_u32_e64 s[40:41], v34, v39                        // 00000000C808: D0CB0028 00024F22
	v_add_u32_e32 v34, 64, v34                                 // 00000000C810: 684444C0
	s_nop 0                                                    // 00000000C814: BF800000
	v_cndmask_b32_e64 v159, v55, v159, s[40:41]                // 00000000C818: D100009F 00A33F37

000000000000c820 <label_2989>:
	s_add_u32 s90, s91, s90                                    // 00000000C820: 805A5A5B
	s_nop 0                                                    // 00000000C824: BF800000
	buffer_load_dwordx4 a[32:35], v25, s[16:19], 0 offen       // 00000000C828: E05C1000 80842019
	s_nop 8                                                    // 00000000C830: BF800008
	buffer_load_dwordx4 a[36:39], v25, s[16:19], 0 offen offset:1024// 00000000C834: E05C1400 80842419
	v_mov_b32_e32 v50, v112                                    // 00000000C83C: 7E640370
	v_max3_f32 v50, v112, v113, v50                            // 00000000C840: D1D30032 04CAE370
	v_max3_f32 v50, v114, v115, v50                            // 00000000C848: D1D30032 04CAE772
	v_max3_f32 v50, v116, v117, v50                            // 00000000C850: D1D30032 04CAEB74
	v_max3_f32 v50, v118, v119, v50                            // 00000000C858: D1D30032 04CAEF76
	v_max3_f32 v50, v120, v121, v50                            // 00000000C860: D1D30032 04CAF378
	v_max3_f32 v50, v122, v123, v50                            // 00000000C868: D1D30032 04CAF77A
	v_max3_f32 v50, v124, v125, v50                            // 00000000C870: D1D30032 04CAFB7C
	v_max3_f32 v50, v126, v127, v50                            // 00000000C878: D1D30032 04CAFF7E
	ds_write_b32 v11, v50                                      // 00000000C880: D81A0000 0000320B
	buffer_load_dwordx4 a[40:43], v25, s[16:19], 0 offen offset:2048// 00000000C888: E05C1800 80842819
	s_waitcnt lgkmcnt(0)                                       // 00000000C890: BF8CC07F
	s_barrier                                                  // 00000000C894: BF8A0000
	ds_read_b32 v64, v10                                       // 00000000C898: D86C0000 4000000A
	buffer_load_dwordx4 a[44:47], v25, s[16:19], 0 offen offset:3072// 00000000C8A0: E05C1C00 80842C19
	ds_read_b32 v65, v10 offset:64                             // 00000000C8A8: D86C0040 4100000A
	ds_read_b32 v66, v10 offset:128                            // 00000000C8B0: D86C0080 4200000A
	ds_read_b32 v67, v10 offset:192                            // 00000000C8B8: D86C00C0 4300000A
	ds_read_b32 v68, v10 offset:256                            // 00000000C8C0: D86C0100 4400000A
	ds_read_b32 v69, v10 offset:320                            // 00000000C8C8: D86C0140 4500000A
	ds_read_b32 v70, v10 offset:384                            // 00000000C8D0: D86C0180 4600000A
	ds_read_b32 v71, v10 offset:448                            // 00000000C8D8: D86C01C0 4700000A
	ds_read_b32 v72, v10 offset:512                            // 00000000C8E0: D86C0200 4800000A
	buffer_load_dwordx4 a[48:51], v26, s[16:19], 0 offen       // 00000000C8E8: E05C1000 8084301A
	ds_read_b32 v73, v10 offset:576                            // 00000000C8F0: D86C0240 4900000A
	ds_read_b32 v74, v10 offset:640                            // 00000000C8F8: D86C0280 4A00000A
	ds_read_b32 v75, v10 offset:704                            // 00000000C900: D86C02C0 4B00000A
	ds_read_b32 v76, v10 offset:768                            // 00000000C908: D86C0300 4C00000A
	ds_read_b32 v77, v10 offset:832                            // 00000000C910: D86C0340 4D00000A
	ds_read_b32 v78, v10 offset:896                            // 00000000C918: D86C0380 4E00000A
	ds_read_b32 v79, v10 offset:960                            // 00000000C920: D86C03C0 4F00000A
	buffer_load_dwordx4 a[52:55], v26, s[16:19], 0 offen offset:1024// 00000000C928: E05C1400 8084341A
	buffer_load_dwordx4 a[56:59], v26, s[16:19], 0 offen offset:2048// 00000000C930: E05C1800 8084381A
	s_waitcnt lgkmcnt(0)                                       // 00000000C938: BF8CC07F
	v_max3_f32 v50, v64, v65, v50                              // 00000000C93C: D1D30032 04CA8340
	v_max3_f32 v50, v66, v67, v50                              // 00000000C944: D1D30032 04CA8742
	v_max3_f32 v50, v68, v69, v50                              // 00000000C94C: D1D30032 04CA8B44
	v_max3_f32 v50, v70, v71, v50                              // 00000000C954: D1D30032 04CA8F46
	v_max3_f32 v50, v72, v73, v50                              // 00000000C95C: D1D30032 04CA9348
	v_max3_f32 v50, v74, v75, v50                              // 00000000C964: D1D30032 04CA974A
	v_max3_f32 v50, v76, v77, v50                              // 00000000C96C: D1D30032 04CA9B4C
	v_max3_f32 v50, v78, v79, v50                              // 00000000C974: D1D30032 04CA9F4E
	buffer_load_dwordx4 a[60:63], v26, s[16:19], 0 offen offset:3072// 00000000C97C: E05C1C00 80843C1A
	v_cmp_eq_u32_e64 s[40:41], v55, v14                        // 00000000C984: D0CA0028 00021D37
	s_nop 1                                                    // 00000000C98C: BF800001
	v_max_f32_e32 v16, v50, v14                                // 00000000C990: 16201D32
	v_sub_f32_e32 v51, v14, v16                                // 00000000C994: 0466210E
	v_cndmask_b32_e64 v51, v51, 0, s[40:41]                    // 00000000C998: D1000033 00A10133
	v_mov_b32_e32 v14, v16                                     // 00000000C9A0: 7E1C0310
	v_mul_f32_e32 v53, s64, v16                                // 00000000C9A4: 0A6A2040
	v_mul_f32_e32 v51, s64, v51                                // 00000000C9A8: 0A666640
	v_exp_f32_e32 v51, v51                                     // 00000000C9AC: 7E664133
	buffer_load_dwordx4 a[128:131], v192, s[20:23], 0 offen    // 00000000C9B0: E05C1000 808580C0
	v_fma_f32 v112, v112, s64, -v53                            // 00000000C9B8: D1CB0070 84D48170
	v_fma_f32 v113, v113, s64, -v53                            // 00000000C9C0: D1CB0071 84D48171
	v_fma_f32 v114, v114, s64, -v53                            // 00000000C9C8: D1CB0072 84D48172
	v_fma_f32 v115, v115, s64, -v53                            // 00000000C9D0: D1CB0073 84D48173
	v_fma_f32 v116, v116, s64, -v53                            // 00000000C9D8: D1CB0074 84D48174
	v_fma_f32 v117, v117, s64, -v53                            // 00000000C9E0: D1CB0075 84D48175
	v_fma_f32 v118, v118, s64, -v53                            // 00000000C9E8: D1CB0076 84D48176
	v_fma_f32 v119, v119, s64, -v53                            // 00000000C9F0: D1CB0077 84D48177
	v_fma_f32 v120, v120, s64, -v53                            // 00000000C9F8: D1CB0078 84D48178
	v_fma_f32 v121, v121, s64, -v53                            // 00000000CA00: D1CB0079 84D48179
	v_fma_f32 v122, v122, s64, -v53                            // 00000000CA08: D1CB007A 84D4817A
	v_fma_f32 v123, v123, s64, -v53                            // 00000000CA10: D1CB007B 84D4817B
	v_fma_f32 v124, v124, s64, -v53                            // 00000000CA18: D1CB007C 84D4817C
	v_fma_f32 v125, v125, s64, -v53                            // 00000000CA20: D1CB007D 84D4817D
	v_fma_f32 v126, v126, s64, -v53                            // 00000000CA28: D1CB007E 84D4817E
	v_fma_f32 v127, v127, s64, -v53                            // 00000000CA30: D1CB007F 84D4817F
	v_exp_f32_e32 v112, v112                                   // 00000000CA38: 7EE04170
	v_exp_f32_e32 v113, v113                                   // 00000000CA3C: 7EE24171
	v_exp_f32_e32 v114, v114                                   // 00000000CA40: 7EE44172
	v_exp_f32_e32 v115, v115                                   // 00000000CA44: 7EE64173
	v_exp_f32_e32 v116, v116                                   // 00000000CA48: 7EE84174
	v_exp_f32_e32 v117, v117                                   // 00000000CA4C: 7EEA4175
	v_exp_f32_e32 v118, v118                                   // 00000000CA50: 7EEC4176
	v_exp_f32_e32 v119, v119                                   // 00000000CA54: 7EEE4177
	v_exp_f32_e32 v120, v120                                   // 00000000CA58: 7EF04178
	v_exp_f32_e32 v121, v121                                   // 00000000CA5C: 7EF24179
	v_exp_f32_e32 v122, v122                                   // 00000000CA60: 7EF4417A
	v_exp_f32_e32 v123, v123                                   // 00000000CA64: 7EF6417B
	v_exp_f32_e32 v124, v124                                   // 00000000CA68: 7EF8417C
	v_exp_f32_e32 v125, v125                                   // 00000000CA6C: 7EFA417D
	v_exp_f32_e32 v126, v126                                   // 00000000CA70: 7EFC417E
	v_exp_f32_e32 v127, v127                                   // 00000000CA74: 7EFE417F
	buffer_load_dwordx4 a[132:135], v193, s[20:23], 0 offen    // 00000000CA78: E05C1000 808584C1
	v_mul_f32_e32 v43, v51, v43                                // 00000000CA80: 0A565733
	v_mov_b32_e32 v45, v112                                    // 00000000CA84: 7E5A0370
	v_add_f32_e32 v45, v113, v45                               // 00000000CA88: 025A5B71
	v_add_f32_e32 v45, v114, v45                               // 00000000CA8C: 025A5B72
	v_add_f32_e32 v45, v115, v45                               // 00000000CA90: 025A5B73
	v_add_f32_e32 v45, v116, v45                               // 00000000CA94: 025A5B74
	v_add_f32_e32 v45, v117, v45                               // 00000000CA98: 025A5B75
	v_add_f32_e32 v45, v118, v45                               // 00000000CA9C: 025A5B76
	v_add_f32_e32 v45, v119, v45                               // 00000000CAA0: 025A5B77
	v_add_f32_e32 v45, v120, v45                               // 00000000CAA4: 025A5B78
	v_add_f32_e32 v45, v121, v45                               // 00000000CAA8: 025A5B79
	v_add_f32_e32 v45, v122, v45                               // 00000000CAAC: 025A5B7A
	v_add_f32_e32 v45, v123, v45                               // 00000000CAB0: 025A5B7B
	v_add_f32_e32 v45, v124, v45                               // 00000000CAB4: 025A5B7C
	v_add_f32_e32 v45, v125, v45                               // 00000000CAB8: 025A5B7D
	v_add_f32_e32 v45, v126, v45                               // 00000000CABC: 025A5B7E
	v_add_f32_e32 v45, v127, v45                               // 00000000CAC0: 025A5B7F
	v_add_f32_e32 v43, v45, v43                                // 00000000CAC4: 0256572D
	buffer_load_dwordx4 a[136:139], v194, s[20:23], 0 offen    // 00000000CAC8: E05C1000 808588C2
	v_cmp_u_f32_e64 s[40:41], v112, v112                       // 00000000CAD0: D0480028 0002E170
	v_add3_u32 v19, v112, v22, 1                               // 00000000CAD8: D1FF0013 02062D70
	v_cndmask_b32_e64 v39, v19, v21, s[40:41]                  // 00000000CAE0: D1000027 00A22B13
	v_cmp_u_f32_e64 s[40:41], v113, v113                       // 00000000CAE8: D0480028 0002E371
	v_add3_u32 v19, v113, v22, 1                               // 00000000CAF0: D1FF0013 02062D71
	v_cndmask_b32_e64 v40, v19, v21, s[40:41]                  // 00000000CAF8: D1000028 00A22B13
	v_perm_b32 v112, v40, v39, s52                             // 00000000CB00: D1ED0070 00D24F28
	v_cmp_u_f32_e64 s[40:41], v114, v114                       // 00000000CB08: D0480028 0002E572
	v_add3_u32 v19, v114, v22, 1                               // 00000000CB10: D1FF0013 02062D72
	v_cndmask_b32_e64 v39, v19, v21, s[40:41]                  // 00000000CB18: D1000027 00A22B13
	v_cmp_u_f32_e64 s[40:41], v115, v115                       // 00000000CB20: D0480028 0002E773
	v_add3_u32 v19, v115, v22, 1                               // 00000000CB28: D1FF0013 02062D73
	v_cndmask_b32_e64 v40, v19, v21, s[40:41]                  // 00000000CB30: D1000028 00A22B13
	v_perm_b32 v113, v40, v39, s52                             // 00000000CB38: D1ED0071 00D24F28
	v_cmp_u_f32_e64 s[40:41], v116, v116                       // 00000000CB40: D0480028 0002E974
	v_add3_u32 v19, v116, v22, 1                               // 00000000CB48: D1FF0013 02062D74
	v_cndmask_b32_e64 v39, v19, v21, s[40:41]                  // 00000000CB50: D1000027 00A22B13
	v_cmp_u_f32_e64 s[40:41], v117, v117                       // 00000000CB58: D0480028 0002EB75
	v_add3_u32 v19, v117, v22, 1                               // 00000000CB60: D1FF0013 02062D75
	v_cndmask_b32_e64 v40, v19, v21, s[40:41]                  // 00000000CB68: D1000028 00A22B13
	v_perm_b32 v114, v40, v39, s52                             // 00000000CB70: D1ED0072 00D24F28
	v_cmp_u_f32_e64 s[40:41], v118, v118                       // 00000000CB78: D0480028 0002ED76
	v_add3_u32 v19, v118, v22, 1                               // 00000000CB80: D1FF0013 02062D76
	v_cndmask_b32_e64 v39, v19, v21, s[40:41]                  // 00000000CB88: D1000027 00A22B13
	v_cmp_u_f32_e64 s[40:41], v119, v119                       // 00000000CB90: D0480028 0002EF77
	v_add3_u32 v19, v119, v22, 1                               // 00000000CB98: D1FF0013 02062D77
	v_cndmask_b32_e64 v40, v19, v21, s[40:41]                  // 00000000CBA0: D1000028 00A22B13
	v_perm_b32 v115, v40, v39, s52                             // 00000000CBA8: D1ED0073 00D24F28
	v_cmp_u_f32_e64 s[40:41], v120, v120                       // 00000000CBB0: D0480028 0002F178
	v_add3_u32 v19, v120, v22, 1                               // 00000000CBB8: D1FF0013 02062D78
	v_cndmask_b32_e64 v39, v19, v21, s[40:41]                  // 00000000CBC0: D1000027 00A22B13
	v_cmp_u_f32_e64 s[40:41], v121, v121                       // 00000000CBC8: D0480028 0002F379
	v_add3_u32 v19, v121, v22, 1                               // 00000000CBD0: D1FF0013 02062D79
	v_cndmask_b32_e64 v40, v19, v21, s[40:41]                  // 00000000CBD8: D1000028 00A22B13
	v_perm_b32 v116, v40, v39, s52                             // 00000000CBE0: D1ED0074 00D24F28
	v_cmp_u_f32_e64 s[40:41], v122, v122                       // 00000000CBE8: D0480028 0002F57A
	v_add3_u32 v19, v122, v22, 1                               // 00000000CBF0: D1FF0013 02062D7A
	v_cndmask_b32_e64 v39, v19, v21, s[40:41]                  // 00000000CBF8: D1000027 00A22B13
	v_cmp_u_f32_e64 s[40:41], v123, v123                       // 00000000CC00: D0480028 0002F77B
	v_add3_u32 v19, v123, v22, 1                               // 00000000CC08: D1FF0013 02062D7B
	v_cndmask_b32_e64 v40, v19, v21, s[40:41]                  // 00000000CC10: D1000028 00A22B13
	v_perm_b32 v117, v40, v39, s52                             // 00000000CC18: D1ED0075 00D24F28
	v_cmp_u_f32_e64 s[40:41], v124, v124                       // 00000000CC20: D0480028 0002F97C
	v_add3_u32 v19, v124, v22, 1                               // 00000000CC28: D1FF0013 02062D7C
	v_cndmask_b32_e64 v39, v19, v21, s[40:41]                  // 00000000CC30: D1000027 00A22B13
	v_cmp_u_f32_e64 s[40:41], v125, v125                       // 00000000CC38: D0480028 0002FB7D
	v_add3_u32 v19, v125, v22, 1                               // 00000000CC40: D1FF0013 02062D7D
	v_cndmask_b32_e64 v40, v19, v21, s[40:41]                  // 00000000CC48: D1000028 00A22B13
	v_perm_b32 v118, v40, v39, s52                             // 00000000CC50: D1ED0076 00D24F28
	v_cmp_u_f32_e64 s[40:41], v126, v126                       // 00000000CC58: D0480028 0002FD7E
	v_add3_u32 v19, v126, v22, 1                               // 00000000CC60: D1FF0013 02062D7E
	v_cndmask_b32_e64 v39, v19, v21, s[40:41]                  // 00000000CC68: D1000027 00A22B13
	v_cmp_u_f32_e64 s[40:41], v127, v127                       // 00000000CC70: D0480028 0002FF7F
	v_add3_u32 v19, v127, v22, 1                               // 00000000CC78: D1FF0013 02062D7F
	v_cndmask_b32_e64 v40, v19, v21, s[40:41]                  // 00000000CC80: D1000028 00A22B13
	v_perm_b32 v119, v40, v39, s52                             // 00000000CC88: D1ED0077 00D24F28
	buffer_load_dwordx4 a[140:143], v195, s[20:23], 0 offen    // 00000000CC90: E05C1000 80858CC3
	buffer_load_dwordx4 a[144:147], v196, s[20:23], 0 offen    // 00000000CC98: E05C1000 808590C4
	ds_write_b64 v13, v[112:113] offset:4096                   // 00000000CCA0: D89A1000 0000700D
	ds_write_b64 v13, v[114:115] offset:6144                   // 00000000CCA8: D89A1800 0000720D
	ds_write_b64 v13, v[116:117] offset:8192                   // 00000000CCB0: D89A2000 0000740D
	ds_write_b64 v13, v[118:119] offset:10240                  // 00000000CCB8: D89A2800 0000760D
	buffer_load_dwordx4 a[148:151], v197, s[20:23], 0 offen    // 00000000CCC0: E05C1000 808594C5
	s_waitcnt lgkmcnt(0)                                       // 00000000CCC8: BF8CC07F
	s_barrier                                                  // 00000000CCCC: BF8A0000
	ds_read_b64 v[112:113], v12 offset:4096                    // 00000000CCD0: D8EC1000 7000000C
	ds_read_b64 v[114:115], v12 offset:4224                    // 00000000CCD8: D8EC1080 7200000C
	ds_read_b64 v[116:117], v12 offset:5120                    // 00000000CCE0: D8EC1400 7400000C
	ds_read_b64 v[118:119], v12 offset:5248                    // 00000000CCE8: D8EC1480 7600000C
	ds_read_b64 v[120:121], v12 offset:6144                    // 00000000CCF0: D8EC1800 7800000C
	ds_read_b64 v[122:123], v12 offset:6272                    // 00000000CCF8: D8EC1880 7A00000C
	ds_read_b64 v[124:125], v12 offset:7168                    // 00000000CD00: D8EC1C00 7C00000C
	ds_read_b64 v[126:127], v12 offset:7296                    // 00000000CD08: D8EC1C80 7E00000C
	ds_read_b64 v[128:129], v12 offset:8192                    // 00000000CD10: D8EC2000 8000000C
	ds_read_b64 v[130:131], v12 offset:8320                    // 00000000CD18: D8EC2080 8200000C
	ds_read_b64 v[132:133], v12 offset:9216                    // 00000000CD20: D8EC2400 8400000C
	ds_read_b64 v[134:135], v12 offset:9344                    // 00000000CD28: D8EC2480 8600000C
	ds_read_b64 v[136:137], v12 offset:10240                   // 00000000CD30: D8EC2800 8800000C
	ds_read_b64 v[138:139], v12 offset:10368                   // 00000000CD38: D8EC2880 8A00000C
	ds_read_b64 v[140:141], v12 offset:11264                   // 00000000CD40: D8EC2C00 8C00000C
	ds_read_b64 v[142:143], v12 offset:11392                   // 00000000CD48: D8EC2C80 8E00000C
	buffer_load_dwordx4 a[152:155], v198, s[20:23], 0 offen    // 00000000CD50: E05C1000 808598C6
	buffer_load_dwordx4 a[156:159], v199, s[20:23], 0 offen    // 00000000CD58: E05C1000 80859CC7
	s_waitcnt lgkmcnt(0)                                       // 00000000CD60: BF8CC07F
	s_nop 8                                                    // 00000000CD64: BF800008
	v_mov_b32_e32 v50, v144                                    // 00000000CD68: 7E640390
	v_max3_f32 v50, v144, v145, v50                            // 00000000CD6C: D1D30032 04CB2390
	v_max3_f32 v50, v146, v147, v50                            // 00000000CD74: D1D30032 04CB2792
	v_max3_f32 v50, v148, v149, v50                            // 00000000CD7C: D1D30032 04CB2B94
	v_max3_f32 v50, v150, v151, v50                            // 00000000CD84: D1D30032 04CB2F96
	v_max3_f32 v50, v152, v153, v50                            // 00000000CD8C: D1D30032 04CB3398
	v_max3_f32 v50, v154, v155, v50                            // 00000000CD94: D1D30032 04CB379A
	v_max3_f32 v50, v156, v157, v50                            // 00000000CD9C: D1D30032 04CB3B9C
	v_max3_f32 v50, v158, v159, v50                            // 00000000CDA4: D1D30032 04CB3F9E
	ds_write_b32 v11, v50                                      // 00000000CDAC: D81A0000 0000320B
	s_waitcnt lgkmcnt(0)                                       // 00000000CDB4: BF8CC07F
	s_barrier                                                  // 00000000CDB8: BF8A0000
	ds_read_b32 v64, v10                                       // 00000000CDBC: D86C0000 4000000A
	ds_read_b32 v65, v10 offset:64                             // 00000000CDC4: D86C0040 4100000A
	ds_read_b32 v66, v10 offset:128                            // 00000000CDCC: D86C0080 4200000A
	ds_read_b32 v67, v10 offset:192                            // 00000000CDD4: D86C00C0 4300000A
	ds_read_b32 v68, v10 offset:256                            // 00000000CDDC: D86C0100 4400000A
	ds_read_b32 v69, v10 offset:320                            // 00000000CDE4: D86C0140 4500000A
	ds_read_b32 v70, v10 offset:384                            // 00000000CDEC: D86C0180 4600000A
	ds_read_b32 v71, v10 offset:448                            // 00000000CDF4: D86C01C0 4700000A
	ds_read_b32 v72, v10 offset:512                            // 00000000CDFC: D86C0200 4800000A
	ds_read_b32 v73, v10 offset:576                            // 00000000CE04: D86C0240 4900000A
	ds_read_b32 v74, v10 offset:640                            // 00000000CE0C: D86C0280 4A00000A
	ds_read_b32 v75, v10 offset:704                            // 00000000CE14: D86C02C0 4B00000A
	ds_read_b32 v76, v10 offset:768                            // 00000000CE1C: D86C0300 4C00000A
	ds_read_b32 v77, v10 offset:832                            // 00000000CE24: D86C0340 4D00000A
	ds_read_b32 v78, v10 offset:896                            // 00000000CE2C: D86C0380 4E00000A
	ds_read_b32 v79, v10 offset:960                            // 00000000CE34: D86C03C0 4F00000A
	s_waitcnt lgkmcnt(0)                                       // 00000000CE3C: BF8CC07F
	v_max3_f32 v50, v64, v65, v50                              // 00000000CE40: D1D30032 04CA8340
	v_max3_f32 v50, v66, v67, v50                              // 00000000CE48: D1D30032 04CA8742
	v_max3_f32 v50, v68, v69, v50                              // 00000000CE50: D1D30032 04CA8B44
	v_max3_f32 v50, v70, v71, v50                              // 00000000CE58: D1D30032 04CA8F46
	v_max3_f32 v50, v72, v73, v50                              // 00000000CE60: D1D30032 04CA9348
	v_max3_f32 v50, v74, v75, v50                              // 00000000CE68: D1D30032 04CA974A
	v_max3_f32 v50, v76, v77, v50                              // 00000000CE70: D1D30032 04CA9B4C
	v_max3_f32 v50, v78, v79, v50                              // 00000000CE78: D1D30032 04CA9F4E
	v_cmp_eq_u32_e64 s[40:41], v55, v15                        // 00000000CE80: D0CA0028 00021F37
	s_nop 1                                                    // 00000000CE88: BF800001
	v_max_f32_e32 v16, v50, v15                                // 00000000CE8C: 16201F32
	v_sub_f32_e32 v52, v15, v16                                // 00000000CE90: 0468210F
	v_cndmask_b32_e64 v52, v52, 0, s[40:41]                    // 00000000CE94: D1000034 00A10134
	v_mov_b32_e32 v15, v16                                     // 00000000CE9C: 7E1E0310
	v_mul_f32_e32 v53, s64, v16                                // 00000000CEA0: 0A6A2040
	v_mul_f32_e32 v52, s64, v52                                // 00000000CEA4: 0A686840
	v_exp_f32_e32 v52, v52                                     // 00000000CEA8: 7E684134
	v_fma_f32 v144, v144, s64, -v53                            // 00000000CEAC: D1CB0090 84D48190
	v_fma_f32 v145, v145, s64, -v53                            // 00000000CEB4: D1CB0091 84D48191
	v_fma_f32 v146, v146, s64, -v53                            // 00000000CEBC: D1CB0092 84D48192
	v_fma_f32 v147, v147, s64, -v53                            // 00000000CEC4: D1CB0093 84D48193
	v_fma_f32 v148, v148, s64, -v53                            // 00000000CECC: D1CB0094 84D48194
	v_fma_f32 v149, v149, s64, -v53                            // 00000000CED4: D1CB0095 84D48195
	v_fma_f32 v150, v150, s64, -v53                            // 00000000CEDC: D1CB0096 84D48196
	v_fma_f32 v151, v151, s64, -v53                            // 00000000CEE4: D1CB0097 84D48197
	v_fma_f32 v152, v152, s64, -v53                            // 00000000CEEC: D1CB0098 84D48198
	v_fma_f32 v153, v153, s64, -v53                            // 00000000CEF4: D1CB0099 84D48199
	v_fma_f32 v154, v154, s64, -v53                            // 00000000CEFC: D1CB009A 84D4819A
	v_fma_f32 v155, v155, s64, -v53                            // 00000000CF04: D1CB009B 84D4819B
	v_fma_f32 v156, v156, s64, -v53                            // 00000000CF0C: D1CB009C 84D4819C
	v_fma_f32 v157, v157, s64, -v53                            // 00000000CF14: D1CB009D 84D4819D
	v_fma_f32 v158, v158, s64, -v53                            // 00000000CF1C: D1CB009E 84D4819E
	v_fma_f32 v159, v159, s64, -v53                            // 00000000CF24: D1CB009F 84D4819F
	v_exp_f32_e32 v144, v144                                   // 00000000CF2C: 7F204190
	v_exp_f32_e32 v145, v145                                   // 00000000CF30: 7F224191
	v_exp_f32_e32 v146, v146                                   // 00000000CF34: 7F244192
	v_exp_f32_e32 v147, v147                                   // 00000000CF38: 7F264193
	v_exp_f32_e32 v148, v148                                   // 00000000CF3C: 7F284194
	v_exp_f32_e32 v149, v149                                   // 00000000CF40: 7F2A4195
	v_exp_f32_e32 v150, v150                                   // 00000000CF44: 7F2C4196
	v_exp_f32_e32 v151, v151                                   // 00000000CF48: 7F2E4197
	v_exp_f32_e32 v152, v152                                   // 00000000CF4C: 7F304198
	v_exp_f32_e32 v153, v153                                   // 00000000CF50: 7F324199
	v_exp_f32_e32 v154, v154                                   // 00000000CF54: 7F34419A
	v_exp_f32_e32 v155, v155                                   // 00000000CF58: 7F36419B
	v_exp_f32_e32 v156, v156                                   // 00000000CF5C: 7F38419C
	v_exp_f32_e32 v157, v157                                   // 00000000CF60: 7F3A419D
	v_exp_f32_e32 v158, v158                                   // 00000000CF64: 7F3C419E
	v_exp_f32_e32 v159, v159                                   // 00000000CF68: 7F3E419F
	v_mul_f32_e32 v44, v52, v44                                // 00000000CF6C: 0A585934
	v_mov_b32_e32 v45, v144                                    // 00000000CF70: 7E5A0390
	v_add_f32_e32 v45, v145, v45                               // 00000000CF74: 025A5B91
	v_add_f32_e32 v45, v146, v45                               // 00000000CF78: 025A5B92
	v_add_f32_e32 v45, v147, v45                               // 00000000CF7C: 025A5B93
	v_add_f32_e32 v45, v148, v45                               // 00000000CF80: 025A5B94
	v_add_f32_e32 v45, v149, v45                               // 00000000CF84: 025A5B95
	v_add_f32_e32 v45, v150, v45                               // 00000000CF88: 025A5B96
	v_add_f32_e32 v45, v151, v45                               // 00000000CF8C: 025A5B97
	v_add_f32_e32 v45, v152, v45                               // 00000000CF90: 025A5B98
	v_add_f32_e32 v45, v153, v45                               // 00000000CF94: 025A5B99
	v_add_f32_e32 v45, v154, v45                               // 00000000CF98: 025A5B9A
	v_add_f32_e32 v45, v155, v45                               // 00000000CF9C: 025A5B9B
	v_add_f32_e32 v45, v156, v45                               // 00000000CFA0: 025A5B9C
	v_add_f32_e32 v45, v157, v45                               // 00000000CFA4: 025A5B9D
	v_add_f32_e32 v45, v158, v45                               // 00000000CFA8: 025A5B9E
	v_add_f32_e32 v45, v159, v45                               // 00000000CFAC: 025A5B9F
	v_add_f32_e32 v44, v45, v44                                // 00000000CFB0: 0258592D
	v_cmp_u_f32_e64 s[40:41], v144, v144                       // 00000000CFB4: D0480028 00032190
	v_add3_u32 v19, v144, v22, 1                               // 00000000CFBC: D1FF0013 02062D90
	v_cndmask_b32_e64 v39, v19, v21, s[40:41]                  // 00000000CFC4: D1000027 00A22B13
	v_cmp_u_f32_e64 s[40:41], v145, v145                       // 00000000CFCC: D0480028 00032391
	v_add3_u32 v19, v145, v22, 1                               // 00000000CFD4: D1FF0013 02062D91
	v_cndmask_b32_e64 v40, v19, v21, s[40:41]                  // 00000000CFDC: D1000028 00A22B13
	v_perm_b32 v144, v40, v39, s52                             // 00000000CFE4: D1ED0090 00D24F28
	v_cmp_u_f32_e64 s[40:41], v146, v146                       // 00000000CFEC: D0480028 00032592
	v_add3_u32 v19, v146, v22, 1                               // 00000000CFF4: D1FF0013 02062D92
	v_cndmask_b32_e64 v39, v19, v21, s[40:41]                  // 00000000CFFC: D1000027 00A22B13
	v_cmp_u_f32_e64 s[40:41], v147, v147                       // 00000000D004: D0480028 00032793
	v_add3_u32 v19, v147, v22, 1                               // 00000000D00C: D1FF0013 02062D93
	v_cndmask_b32_e64 v40, v19, v21, s[40:41]                  // 00000000D014: D1000028 00A22B13
	v_perm_b32 v145, v40, v39, s52                             // 00000000D01C: D1ED0091 00D24F28
	v_cmp_u_f32_e64 s[40:41], v148, v148                       // 00000000D024: D0480028 00032994
	v_add3_u32 v19, v148, v22, 1                               // 00000000D02C: D1FF0013 02062D94
	v_cndmask_b32_e64 v39, v19, v21, s[40:41]                  // 00000000D034: D1000027 00A22B13
	v_cmp_u_f32_e64 s[40:41], v149, v149                       // 00000000D03C: D0480028 00032B95
	v_add3_u32 v19, v149, v22, 1                               // 00000000D044: D1FF0013 02062D95
	v_cndmask_b32_e64 v40, v19, v21, s[40:41]                  // 00000000D04C: D1000028 00A22B13
	v_perm_b32 v146, v40, v39, s52                             // 00000000D054: D1ED0092 00D24F28
	v_cmp_u_f32_e64 s[40:41], v150, v150                       // 00000000D05C: D0480028 00032D96
	v_add3_u32 v19, v150, v22, 1                               // 00000000D064: D1FF0013 02062D96
	v_cndmask_b32_e64 v39, v19, v21, s[40:41]                  // 00000000D06C: D1000027 00A22B13
	v_cmp_u_f32_e64 s[40:41], v151, v151                       // 00000000D074: D0480028 00032F97
	v_add3_u32 v19, v151, v22, 1                               // 00000000D07C: D1FF0013 02062D97
	v_cndmask_b32_e64 v40, v19, v21, s[40:41]                  // 00000000D084: D1000028 00A22B13
	v_perm_b32 v147, v40, v39, s52                             // 00000000D08C: D1ED0093 00D24F28
	v_cmp_u_f32_e64 s[40:41], v152, v152                       // 00000000D094: D0480028 00033198
	v_add3_u32 v19, v152, v22, 1                               // 00000000D09C: D1FF0013 02062D98
	v_cndmask_b32_e64 v39, v19, v21, s[40:41]                  // 00000000D0A4: D1000027 00A22B13
	v_cmp_u_f32_e64 s[40:41], v153, v153                       // 00000000D0AC: D0480028 00033399
	v_add3_u32 v19, v153, v22, 1                               // 00000000D0B4: D1FF0013 02062D99
	v_cndmask_b32_e64 v40, v19, v21, s[40:41]                  // 00000000D0BC: D1000028 00A22B13
	v_perm_b32 v148, v40, v39, s52                             // 00000000D0C4: D1ED0094 00D24F28
	v_cmp_u_f32_e64 s[40:41], v154, v154                       // 00000000D0CC: D0480028 0003359A
	v_add3_u32 v19, v154, v22, 1                               // 00000000D0D4: D1FF0013 02062D9A
	v_cndmask_b32_e64 v39, v19, v21, s[40:41]                  // 00000000D0DC: D1000027 00A22B13
	v_cmp_u_f32_e64 s[40:41], v155, v155                       // 00000000D0E4: D0480028 0003379B
	v_add3_u32 v19, v155, v22, 1                               // 00000000D0EC: D1FF0013 02062D9B
	v_cndmask_b32_e64 v40, v19, v21, s[40:41]                  // 00000000D0F4: D1000028 00A22B13
	v_perm_b32 v149, v40, v39, s52                             // 00000000D0FC: D1ED0095 00D24F28
	v_cmp_u_f32_e64 s[40:41], v156, v156                       // 00000000D104: D0480028 0003399C
	v_add3_u32 v19, v156, v22, 1                               // 00000000D10C: D1FF0013 02062D9C
	v_cndmask_b32_e64 v39, v19, v21, s[40:41]                  // 00000000D114: D1000027 00A22B13
	v_cmp_u_f32_e64 s[40:41], v157, v157                       // 00000000D11C: D0480028 00033B9D
	v_add3_u32 v19, v157, v22, 1                               // 00000000D124: D1FF0013 02062D9D
	v_cndmask_b32_e64 v40, v19, v21, s[40:41]                  // 00000000D12C: D1000028 00A22B13
	v_perm_b32 v150, v40, v39, s52                             // 00000000D134: D1ED0096 00D24F28
	v_cmp_u_f32_e64 s[40:41], v158, v158                       // 00000000D13C: D0480028 00033D9E
	v_add3_u32 v19, v158, v22, 1                               // 00000000D144: D1FF0013 02062D9E
	v_cndmask_b32_e64 v39, v19, v21, s[40:41]                  // 00000000D14C: D1000027 00A22B13
	v_cmp_u_f32_e64 s[40:41], v159, v159                       // 00000000D154: D0480028 00033F9F
	v_add3_u32 v19, v159, v22, 1                               // 00000000D15C: D1FF0013 02062D9F
	v_cndmask_b32_e64 v40, v19, v21, s[40:41]                  // 00000000D164: D1000028 00A22B13
	v_perm_b32 v151, v40, v39, s52                             // 00000000D16C: D1ED0097 00D24F28
	ds_write_b64 v13, v[144:145] offset:4096                   // 00000000D174: D89A1000 0000900D
	ds_write_b64 v13, v[146:147] offset:6144                   // 00000000D17C: D89A1800 0000920D
	ds_write_b64 v13, v[148:149] offset:8192                   // 00000000D184: D89A2000 0000940D
	ds_write_b64 v13, v[150:151] offset:10240                  // 00000000D18C: D89A2800 0000960D
	s_waitcnt lgkmcnt(0)                                       // 00000000D194: BF8CC07F
	s_barrier                                                  // 00000000D198: BF8A0000
	ds_read_b64 v[144:145], v12 offset:4096                    // 00000000D19C: D8EC1000 9000000C
	ds_read_b64 v[146:147], v12 offset:4224                    // 00000000D1A4: D8EC1080 9200000C
	ds_read_b64 v[148:149], v12 offset:5120                    // 00000000D1AC: D8EC1400 9400000C
	ds_read_b64 v[150:151], v12 offset:5248                    // 00000000D1B4: D8EC1480 9600000C
	ds_read_b64 v[152:153], v12 offset:6144                    // 00000000D1BC: D8EC1800 9800000C
	ds_read_b64 v[154:155], v12 offset:6272                    // 00000000D1C4: D8EC1880 9A00000C
	ds_read_b64 v[156:157], v12 offset:7168                    // 00000000D1CC: D8EC1C00 9C00000C
	ds_read_b64 v[158:159], v12 offset:7296                    // 00000000D1D4: D8EC1C80 9E00000C
	ds_read_b64 v[160:161], v12 offset:8192                    // 00000000D1DC: D8EC2000 A000000C
	ds_read_b64 v[162:163], v12 offset:8320                    // 00000000D1E4: D8EC2080 A200000C
	ds_read_b64 v[164:165], v12 offset:9216                    // 00000000D1EC: D8EC2400 A400000C
	ds_read_b64 v[166:167], v12 offset:9344                    // 00000000D1F4: D8EC2480 A600000C
	ds_read_b64 v[168:169], v12 offset:10240                   // 00000000D1FC: D8EC2800 A800000C
	ds_read_b64 v[170:171], v12 offset:10368                   // 00000000D204: D8EC2880 AA00000C
	ds_read_b64 v[172:173], v12 offset:11264                   // 00000000D20C: D8EC2C00 AC00000C
	ds_read_b64 v[174:175], v12 offset:11392                   // 00000000D214: D8EC2C80 AE00000C
	s_waitcnt lgkmcnt(0)                                       // 00000000D21C: BF8CC07F
	v_mul_f32_e32 v176, v51, v176                              // 00000000D220: 0B616133
	v_mul_f32_e32 v177, v51, v177                              // 00000000D224: 0B636333
	v_mul_f32_e32 v178, v51, v178                              // 00000000D228: 0B656533
	v_mul_f32_e32 v179, v51, v179                              // 00000000D22C: 0B676733
	v_mul_f32_e32 v180, v51, v180                              // 00000000D230: 0B696933
	v_mul_f32_e32 v181, v51, v181                              // 00000000D234: 0B6B6B33
	v_mul_f32_e32 v182, v51, v182                              // 00000000D238: 0B6D6D33
	v_mul_f32_e32 v183, v51, v183                              // 00000000D23C: 0B6F6F33
	v_mul_f32_e32 v184, v52, v184                              // 00000000D240: 0B717134
	v_mul_f32_e32 v185, v52, v185                              // 00000000D244: 0B737334
	v_mul_f32_e32 v186, v52, v186                              // 00000000D248: 0B757534
	v_mul_f32_e32 v187, v52, v187                              // 00000000D24C: 0B777734
	v_mul_f32_e32 v188, v52, v188                              // 00000000D250: 0B797934
	v_mul_f32_e32 v189, v52, v189                              // 00000000D254: 0B7B7B34
	v_mul_f32_e32 v190, v52, v190                              // 00000000D258: 0B7D7D34
	v_mul_f32_e32 v191, v52, v191                              // 00000000D25C: 0B7F7F34
	s_waitcnt vmcnt(24)                                        // 00000000D260: BF8C4F78
	v_mfma_f32_16x16x16_bf16 v[176:179], a[192:193], v[112:113], v[176:179]// 00000000D264: D3E100B0 0EC2E1C0
	v_mfma_f32_16x16x16_bf16 v[176:179], a[194:195], v[114:115], v[176:179]// 00000000D26C: D3E100B0 0EC2E5C2
	buffer_load_dwordx4 a[160:163], v192, s[20:23], 0 offen offset:1024// 00000000D274: E05C1400 8085A0C0
	v_mfma_f32_16x16x16_bf16 v[176:179], a[196:197], v[116:117], v[176:179]// 00000000D27C: D3E100B0 0EC2E9C4
	v_mfma_f32_16x16x16_bf16 v[176:179], a[198:199], v[118:119], v[176:179]// 00000000D284: D3E100B0 0EC2EDC6
	v_mfma_f32_16x16x16_bf16 v[176:179], a[200:201], v[120:121], v[176:179]// 00000000D28C: D3E100B0 0EC2F1C8
	v_mfma_f32_16x16x16_bf16 v[176:179], a[202:203], v[122:123], v[176:179]// 00000000D294: D3E100B0 0EC2F5CA
	buffer_load_dwordx4 a[164:167], v193, s[20:23], 0 offen offset:1024// 00000000D29C: E05C1400 8085A4C1
	v_mfma_f32_16x16x16_bf16 v[176:179], a[204:205], v[124:125], v[176:179]// 00000000D2A4: D3E100B0 0EC2F9CC
	v_mfma_f32_16x16x16_bf16 v[176:179], a[206:207], v[126:127], v[176:179]// 00000000D2AC: D3E100B0 0EC2FDCE
	v_mfma_f32_16x16x16_bf16 v[176:179], a[208:209], v[128:129], v[176:179]// 00000000D2B4: D3E100B0 0EC301D0
	v_mfma_f32_16x16x16_bf16 v[176:179], a[210:211], v[130:131], v[176:179]// 00000000D2BC: D3E100B0 0EC305D2
	buffer_load_dwordx4 a[168:171], v194, s[20:23], 0 offen offset:1024// 00000000D2C4: E05C1400 8085A8C2
	v_mfma_f32_16x16x16_bf16 v[176:179], a[212:213], v[132:133], v[176:179]// 00000000D2CC: D3E100B0 0EC309D4
	v_mfma_f32_16x16x16_bf16 v[176:179], a[214:215], v[134:135], v[176:179]// 00000000D2D4: D3E100B0 0EC30DD6
	v_mfma_f32_16x16x16_bf16 v[176:179], a[216:217], v[136:137], v[176:179]// 00000000D2DC: D3E100B0 0EC311D8
	v_mfma_f32_16x16x16_bf16 v[176:179], a[218:219], v[138:139], v[176:179]// 00000000D2E4: D3E100B0 0EC315DA
	buffer_load_dwordx4 a[172:175], v195, s[20:23], 0 offen offset:1024// 00000000D2EC: E05C1400 8085ACC3
	v_mfma_f32_16x16x16_bf16 v[176:179], a[220:221], v[140:141], v[176:179]// 00000000D2F4: D3E100B0 0EC319DC
	v_mfma_f32_16x16x16_bf16 v[176:179], a[222:223], v[142:143], v[176:179]// 00000000D2FC: D3E100B0 0EC31DDE
	v_mfma_f32_16x16x16_bf16 v[180:183], a[224:225], v[112:113], v[180:183]// 00000000D304: D3E100B4 0ED2E1E0
	v_mfma_f32_16x16x16_bf16 v[180:183], a[226:227], v[114:115], v[180:183]// 00000000D30C: D3E100B4 0ED2E5E2
	buffer_load_dwordx4 a[176:179], v196, s[20:23], 0 offen offset:1024// 00000000D314: E05C1400 8085B0C4
	v_mfma_f32_16x16x16_bf16 v[180:183], a[228:229], v[116:117], v[180:183]// 00000000D31C: D3E100B4 0ED2E9E4
	v_mfma_f32_16x16x16_bf16 v[180:183], a[230:231], v[118:119], v[180:183]// 00000000D324: D3E100B4 0ED2EDE6
	v_mfma_f32_16x16x16_bf16 v[180:183], a[232:233], v[120:121], v[180:183]// 00000000D32C: D3E100B4 0ED2F1E8
	v_mfma_f32_16x16x16_bf16 v[180:183], a[234:235], v[122:123], v[180:183]// 00000000D334: D3E100B4 0ED2F5EA
	buffer_load_dwordx4 a[180:183], v197, s[20:23], 0 offen offset:1024// 00000000D33C: E05C1400 8085B4C5
	v_mfma_f32_16x16x16_bf16 v[180:183], a[236:237], v[124:125], v[180:183]// 00000000D344: D3E100B4 0ED2F9EC
	v_mfma_f32_16x16x16_bf16 v[180:183], a[238:239], v[126:127], v[180:183]// 00000000D34C: D3E100B4 0ED2FDEE
	v_mfma_f32_16x16x16_bf16 v[180:183], a[240:241], v[128:129], v[180:183]// 00000000D354: D3E100B4 0ED301F0
	v_mfma_f32_16x16x16_bf16 v[180:183], a[242:243], v[130:131], v[180:183]// 00000000D35C: D3E100B4 0ED305F2
	buffer_load_dwordx4 a[184:187], v198, s[20:23], 0 offen offset:1024// 00000000D364: E05C1400 8085B8C6
	v_mfma_f32_16x16x16_bf16 v[180:183], a[244:245], v[132:133], v[180:183]// 00000000D36C: D3E100B4 0ED309F4
	v_mfma_f32_16x16x16_bf16 v[180:183], a[246:247], v[134:135], v[180:183]// 00000000D374: D3E100B4 0ED30DF6
	v_mfma_f32_16x16x16_bf16 v[180:183], a[248:249], v[136:137], v[180:183]// 00000000D37C: D3E100B4 0ED311F8
	v_mfma_f32_16x16x16_bf16 v[180:183], a[250:251], v[138:139], v[180:183]// 00000000D384: D3E100B4 0ED315FA
	buffer_load_dwordx4 a[188:191], v199, s[20:23], 0 offen offset:1024// 00000000D38C: E05C1400 8085BCC7
	v_mfma_f32_16x16x16_bf16 v[180:183], a[252:253], v[140:141], v[180:183]// 00000000D394: D3E100B4 0ED319FC
	v_mfma_f32_16x16x16_bf16 v[180:183], a[254:255], v[142:143], v[180:183]// 00000000D39C: D3E100B4 0ED31DFE
	v_mfma_f32_16x16x16_bf16 v[184:187], a[192:193], v[144:145], v[184:187]// 00000000D3A4: D3E100B8 0EE321C0
	v_mfma_f32_16x16x16_bf16 v[184:187], a[194:195], v[146:147], v[184:187]// 00000000D3AC: D3E100B8 0EE325C2
	v_mfma_f32_16x16x16_bf16 v[184:187], a[196:197], v[148:149], v[184:187]// 00000000D3B4: D3E100B8 0EE329C4
	v_mfma_f32_16x16x16_bf16 v[184:187], a[198:199], v[150:151], v[184:187]// 00000000D3BC: D3E100B8 0EE32DC6
	v_mfma_f32_16x16x16_bf16 v[184:187], a[200:201], v[152:153], v[184:187]// 00000000D3C4: D3E100B8 0EE331C8
	v_mfma_f32_16x16x16_bf16 v[184:187], a[202:203], v[154:155], v[184:187]// 00000000D3CC: D3E100B8 0EE335CA
	v_mfma_f32_16x16x16_bf16 v[184:187], a[204:205], v[156:157], v[184:187]// 00000000D3D4: D3E100B8 0EE339CC
	v_mfma_f32_16x16x16_bf16 v[184:187], a[206:207], v[158:159], v[184:187]// 00000000D3DC: D3E100B8 0EE33DCE
	v_mfma_f32_16x16x16_bf16 v[184:187], a[208:209], v[160:161], v[184:187]// 00000000D3E4: D3E100B8 0EE341D0
	v_mfma_f32_16x16x16_bf16 v[184:187], a[210:211], v[162:163], v[184:187]// 00000000D3EC: D3E100B8 0EE345D2
	v_mfma_f32_16x16x16_bf16 v[184:187], a[212:213], v[164:165], v[184:187]// 00000000D3F4: D3E100B8 0EE349D4
	v_mfma_f32_16x16x16_bf16 v[184:187], a[214:215], v[166:167], v[184:187]// 00000000D3FC: D3E100B8 0EE34DD6
	v_mfma_f32_16x16x16_bf16 v[184:187], a[216:217], v[168:169], v[184:187]// 00000000D404: D3E100B8 0EE351D8
	v_mfma_f32_16x16x16_bf16 v[184:187], a[218:219], v[170:171], v[184:187]// 00000000D40C: D3E100B8 0EE355DA
	v_mfma_f32_16x16x16_bf16 v[184:187], a[220:221], v[172:173], v[184:187]// 00000000D414: D3E100B8 0EE359DC
	v_mfma_f32_16x16x16_bf16 v[184:187], a[222:223], v[174:175], v[184:187]// 00000000D41C: D3E100B8 0EE35DDE
	v_mfma_f32_16x16x16_bf16 v[188:191], a[224:225], v[144:145], v[188:191]// 00000000D424: D3E100BC 0EF321E0
	v_mfma_f32_16x16x16_bf16 v[188:191], a[226:227], v[146:147], v[188:191]// 00000000D42C: D3E100BC 0EF325E2
	v_mfma_f32_16x16x16_bf16 v[188:191], a[228:229], v[148:149], v[188:191]// 00000000D434: D3E100BC 0EF329E4
	v_mfma_f32_16x16x16_bf16 v[188:191], a[230:231], v[150:151], v[188:191]// 00000000D43C: D3E100BC 0EF32DE6
	v_mfma_f32_16x16x16_bf16 v[188:191], a[232:233], v[152:153], v[188:191]// 00000000D444: D3E100BC 0EF331E8
	v_mfma_f32_16x16x16_bf16 v[188:191], a[234:235], v[154:155], v[188:191]// 00000000D44C: D3E100BC 0EF335EA
	v_mfma_f32_16x16x16_bf16 v[188:191], a[236:237], v[156:157], v[188:191]// 00000000D454: D3E100BC 0EF339EC
	v_mfma_f32_16x16x16_bf16 v[188:191], a[238:239], v[158:159], v[188:191]// 00000000D45C: D3E100BC 0EF33DEE
	v_mfma_f32_16x16x16_bf16 v[188:191], a[240:241], v[160:161], v[188:191]// 00000000D464: D3E100BC 0EF341F0
	v_mfma_f32_16x16x16_bf16 v[188:191], a[242:243], v[162:163], v[188:191]// 00000000D46C: D3E100BC 0EF345F2
	v_mfma_f32_16x16x16_bf16 v[188:191], a[244:245], v[164:165], v[188:191]// 00000000D474: D3E100BC 0EF349F4
	v_mfma_f32_16x16x16_bf16 v[188:191], a[246:247], v[166:167], v[188:191]// 00000000D47C: D3E100BC 0EF34DF6
	v_mfma_f32_16x16x16_bf16 v[188:191], a[248:249], v[168:169], v[188:191]// 00000000D484: D3E100BC 0EF351F8
	v_mfma_f32_16x16x16_bf16 v[188:191], a[250:251], v[170:171], v[188:191]// 00000000D48C: D3E100BC 0EF355FA
	v_mfma_f32_16x16x16_bf16 v[188:191], a[252:253], v[172:173], v[188:191]// 00000000D494: D3E100BC 0EF359FC
	v_mfma_f32_16x16x16_bf16 v[188:191], a[254:255], v[174:175], v[188:191]// 00000000D49C: D3E100BC 0EF35DFE
	s_lshr_b32 s60, s70, 4                                     // 00000000D4A4: 8F3C8446
	s_add_u32 s60, 48, s60                                     // 00000000D4A8: 803C3CB0
	s_cmp_ge_u32 s60, s73                                      // 00000000D4AC: BF09493C
	s_cselect_b32 s56, 0, s56                                  // 00000000D4B0: 85383880
	v_mul_u32_u24_dpp v39, v18, v54 row_newbcast:0 row_mask:0xf bank_mask:0xf// 00000000D4B4: 104E6CFA FF015012
	v_mul_u32_u24_dpp v40, v18, v54 row_newbcast:4 row_mask:0xf bank_mask:0xf// 00000000D4BC: 10506CFA FF015412
	v_mul_u32_u24_dpp v41, v18, v54 row_newbcast:8 row_mask:0xf bank_mask:0xf// 00000000D4C4: 10526CFA FF015812
	v_mul_u32_u24_dpp v42, v18, v54 row_newbcast:12 row_mask:0xf bank_mask:0xf// 00000000D4CC: 10546CFA FF015C12
	v_add_u32_e32 v27, v39, v6                                 // 00000000D4D4: 68360D27
	v_add_u32_e32 v28, v40, v6                                 // 00000000D4D8: 68380D28
	v_add_u32_e32 v29, v41, v6                                 // 00000000D4DC: 683A0D29
	v_add_u32_e32 v30, v42, v6                                 // 00000000D4E0: 683C0D2A
	v_mul_u32_u24_dpp v39, v18, v54 row_newbcast:1 row_mask:0xf bank_mask:0xf// 00000000D4E4: 104E6CFA FF015112
	v_mul_u32_u24_dpp v40, v18, v54 row_newbcast:2 row_mask:0xf bank_mask:0xf// 00000000D4EC: 10506CFA FF015212
	v_mul_u32_u24_dpp v41, v18, v54 row_newbcast:5 row_mask:0xf bank_mask:0xf// 00000000D4F4: 10526CFA FF015512
	v_mul_u32_u24_dpp v42, v18, v54 row_newbcast:6 row_mask:0xf bank_mask:0xf// 00000000D4FC: 10546CFA FF015612
	v_add_u32_e32 v200, v39, v7                                // 00000000D504: 69900F27
	v_add_u32_e32 v201, v40, v7                                // 00000000D508: 69920F28
	v_add_u32_e32 v202, v41, v7                                // 00000000D50C: 69940F29
	v_add_u32_e32 v203, v42, v7                                // 00000000D510: 69960F2A
	v_mul_u32_u24_dpp v39, v18, v54 row_newbcast:9 row_mask:0xf bank_mask:0xf// 00000000D514: 104E6CFA FF015912
	v_mul_u32_u24_dpp v40, v18, v54 row_newbcast:10 row_mask:0xf bank_mask:0xf// 00000000D51C: 10506CFA FF015A12
	v_mul_u32_u24_dpp v41, v18, v54 row_newbcast:13 row_mask:0xf bank_mask:0xf// 00000000D524: 10526CFA FF015D12
	v_mul_u32_u24_dpp v42, v18, v54 row_newbcast:7 row_mask:0xf bank_mask:0xf// 00000000D52C: 10546CFA FF015712
	v_add_u32_e32 v204, v39, v7                                // 00000000D534: 69980F27
	v_add_u32_e32 v205, v40, v7                                // 00000000D538: 699A0F28
	v_add_u32_e32 v206, v41, v7                                // 00000000D53C: 699C0F29
	v_add_u32_e32 v207, v42, v7                                // 00000000D540: 699E0F2A
	v_add_u32_e32 v1, s56, v1                                  // 00000000D544: 68020238
	s_addk_i32 s70, 0x100                                      // 00000000D548: B7460100
	s_cmp_lt_i32 s70, s71                                      // 00000000D54C: BF044746
	s_cbranch_scc0 label_2CD7                                  // 00000000D550: BF840001
	s_branch label_2340                                        // 00000000D554: BF82F669

000000000000d558 <label_2CD7>:
	s_nop 0                                                    // 00000000D558: BF800000
	s_nop 0                                                    // 00000000D55C: BF800000
	s_branch label_3671                                        // 00000000D560: BF820997

000000000000d564 <label_2CDA>:
	s_waitcnt vmcnt(16) lgkmcnt(0)                             // 00000000D564: BF8C4070
	v_mfma_f32_16x16x16_bf16 v[112:115], a[0:1], v[80:81], 0   // 00000000D568: D3E10070 0A02A100
	buffer_load_dwordx4 a[64:67], v27, s[16:19], 0 offen       // 00000000D570: E05C1000 8084401B
	v_mfma_f32_16x16x16_bf16 v[112:115], a[2:3], v[82:83], v[112:115]// 00000000D578: D3E10070 0DC2A502
	v_mfma_f32_16x16x16_bf16 v[112:115], a[4:5], v[84:85], v[112:115]// 00000000D580: D3E10070 0DC2A904
	buffer_load_dword v17, v1, s[24:27], 0 offen               // 00000000D588: E0501000 80061101
	v_mfma_f32_16x16x16_bf16 v[112:115], a[6:7], v[86:87], v[112:115]// 00000000D590: D3E10070 0DC2AD06
	v_mfma_f32_16x16x16_bf16 v[112:115], a[8:9], v[88:89], v[112:115]// 00000000D598: D3E10070 0DC2B108
	buffer_load_dwordx4 a[68:71], v27, s[16:19], 0 offen offset:1024// 00000000D5A0: E05C1400 8084441B
	v_mfma_f32_16x16x16_bf16 v[112:115], a[10:11], v[90:91], v[112:115]// 00000000D5A8: D3E10070 0DC2B50A
	v_mfma_f32_16x16x16_bf16 v[112:115], a[12:13], v[92:93], v[112:115]// 00000000D5B0: D3E10070 0DC2B90C
	v_mfma_f32_16x16x16_bf16 v[112:115], a[14:15], v[94:95], v[112:115]// 00000000D5B8: D3E10070 0DC2BD0E
	v_mfma_f32_16x16x16_bf16 v[116:119], a[16:17], v[80:81], 0 // 00000000D5C0: D3E10074 0A02A110
	buffer_load_dwordx4 a[72:75], v27, s[16:19], 0 offen offset:2048// 00000000D5C8: E05C1800 8084481B
	v_mfma_f32_16x16x16_bf16 v[116:119], a[18:19], v[82:83], v[116:119]// 00000000D5D0: D3E10074 0DD2A512
	v_mfma_f32_16x16x16_bf16 v[116:119], a[20:21], v[84:85], v[116:119]// 00000000D5D8: D3E10074 0DD2A914
	v_mfma_f32_16x16x16_bf16 v[116:119], a[22:23], v[86:87], v[116:119]// 00000000D5E0: D3E10074 0DD2AD16
	v_mfma_f32_16x16x16_bf16 v[116:119], a[24:25], v[88:89], v[116:119]// 00000000D5E8: D3E10074 0DD2B118
	buffer_load_dwordx4 a[76:79], v27, s[16:19], 0 offen offset:3072// 00000000D5F0: E05C1C00 80844C1B
	v_mfma_f32_16x16x16_bf16 v[116:119], a[26:27], v[90:91], v[116:119]// 00000000D5F8: D3E10074 0DD2B51A
	v_mfma_f32_16x16x16_bf16 v[116:119], a[28:29], v[92:93], v[116:119]// 00000000D600: D3E10074 0DD2B91C
	v_mfma_f32_16x16x16_bf16 v[116:119], a[30:31], v[94:95], v[116:119]// 00000000D608: D3E10074 0DD2BD1E
	v_mfma_f32_16x16x16_bf16 v[120:123], a[32:33], v[80:81], 0 // 00000000D610: D3E10078 0A02A120
	buffer_load_dwordx4 a[80:83], v28, s[16:19], 0 offen       // 00000000D618: E05C1000 8084501C
	v_mfma_f32_16x16x16_bf16 v[120:123], a[34:35], v[82:83], v[120:123]// 00000000D620: D3E10078 0DE2A522
	v_mfma_f32_16x16x16_bf16 v[120:123], a[36:37], v[84:85], v[120:123]// 00000000D628: D3E10078 0DE2A924
	v_mfma_f32_16x16x16_bf16 v[120:123], a[38:39], v[86:87], v[120:123]// 00000000D630: D3E10078 0DE2AD26
	v_mfma_f32_16x16x16_bf16 v[120:123], a[40:41], v[88:89], v[120:123]// 00000000D638: D3E10078 0DE2B128
	buffer_load_dwordx4 a[84:87], v28, s[16:19], 0 offen offset:1024// 00000000D640: E05C1400 8084541C
	v_mfma_f32_16x16x16_bf16 v[120:123], a[42:43], v[90:91], v[120:123]// 00000000D648: D3E10078 0DE2B52A
	v_mfma_f32_16x16x16_bf16 v[120:123], a[44:45], v[92:93], v[120:123]// 00000000D650: D3E10078 0DE2B92C
	v_mfma_f32_16x16x16_bf16 v[120:123], a[46:47], v[94:95], v[120:123]// 00000000D658: D3E10078 0DE2BD2E
	v_mfma_f32_16x16x16_bf16 v[124:127], a[48:49], v[80:81], 0 // 00000000D660: D3E1007C 0A02A130
	buffer_load_dwordx4 a[88:91], v28, s[16:19], 0 offen offset:2048// 00000000D668: E05C1800 8084581C
	v_mfma_f32_16x16x16_bf16 v[124:127], a[50:51], v[82:83], v[124:127]// 00000000D670: D3E1007C 0DF2A532
	v_mfma_f32_16x16x16_bf16 v[124:127], a[52:53], v[84:85], v[124:127]// 00000000D678: D3E1007C 0DF2A934
	v_mfma_f32_16x16x16_bf16 v[124:127], a[54:55], v[86:87], v[124:127]// 00000000D680: D3E1007C 0DF2AD36
	v_mfma_f32_16x16x16_bf16 v[124:127], a[56:57], v[88:89], v[124:127]// 00000000D688: D3E1007C 0DF2B138
	buffer_load_dwordx4 a[92:95], v28, s[16:19], 0 offen offset:3072// 00000000D690: E05C1C00 80845C1C
	v_mfma_f32_16x16x16_bf16 v[124:127], a[58:59], v[90:91], v[124:127]// 00000000D698: D3E1007C 0DF2B53A
	v_mfma_f32_16x16x16_bf16 v[124:127], a[60:61], v[92:93], v[124:127]// 00000000D6A0: D3E1007C 0DF2B93C
	v_mfma_f32_16x16x16_bf16 v[124:127], a[62:63], v[94:95], v[124:127]// 00000000D6A8: D3E1007C 0DF2BD3E
	s_cmp_le_i32 s90, s89                                      // 00000000D6B0: BF05595A
	s_cbranch_scc1 label_2DA2                                  // 00000000D6B4: BF850073
	v_mov_b32_e32 v55, 0xff800000                              // 00000000D6B8: 7E6E02FF FF800000
	s_mov_b32 s60, s90                                         // 00000000D6C0: BEBC005A
	s_add_u32 s61, s89, 0xff                                   // 00000000D6C4: 803DFF59 000000FF
	v_mov_b32_e32 v39, s61                                     // 00000000D6CC: 7E4E023D
	v_lshrrev_b32_e32 v31, 4, v0                               // 00000000D6D0: 203E0084
	v_mul_i32_i24_e32 v31, 4, v31                              // 00000000D6D4: 0C3E3E84
	v_add_u32_e32 v31, s60, v31                                // 00000000D6D8: 683E3E3C
	v_and_b32_e32 v40, 15, v0                                  // 00000000D6DC: 2650008F
	v_lshrrev_b32_e32 v40, 3, v40                              // 00000000D6E0: 20505083
	s_mov_b32 s61, 0                                           // 00000000D6E4: BEBD0080
	s_mul_i32 s60, 16, s7                                      // 00000000D6E8: 923C0790
	v_add_u32_e32 v40, s61, v40                                // 00000000D6EC: 6850503D
	v_sub_u32_e32 v31, v31, v40                                // 00000000D6F0: 6A3E511F
	v_add_u32_e32 v31, s60, v31                                // 00000000D6F4: 683E3E3C
	v_add_u32_e32 v32, 1, v31                                  // 00000000D6F8: 68403E81
	v_add_u32_e32 v33, 2, v31                                  // 00000000D6FC: 68423E82
	v_add_u32_e32 v34, 3, v31                                  // 00000000D700: 68443E83
	v_cmp_le_u32_e64 s[40:41], v31, v39                        // 00000000D704: D0CB0028 00024F1F
	v_add_u32_e32 v31, 64, v31                                 // 00000000D70C: 683E3EC0
	s_nop 0                                                    // 00000000D710: BF800000
	v_cndmask_b32_e64 v112, v55, v112, s[40:41]                // 00000000D714: D1000070 00A2E137
	v_cmp_le_u32_e64 s[40:41], v32, v39                        // 00000000D71C: D0CB0028 00024F20
	v_add_u32_e32 v32, 64, v32                                 // 00000000D724: 684040C0
	s_nop 0                                                    // 00000000D728: BF800000
	v_cndmask_b32_e64 v113, v55, v113, s[40:41]                // 00000000D72C: D1000071 00A2E337
	v_cmp_le_u32_e64 s[40:41], v33, v39                        // 00000000D734: D0CB0028 00024F21
	v_add_u32_e32 v33, 64, v33                                 // 00000000D73C: 684242C0
	s_nop 0                                                    // 00000000D740: BF800000
	v_cndmask_b32_e64 v114, v55, v114, s[40:41]                // 00000000D744: D1000072 00A2E537
	v_cmp_le_u32_e64 s[40:41], v34, v39                        // 00000000D74C: D0CB0028 00024F22
	v_add_u32_e32 v34, 64, v34                                 // 00000000D754: 684444C0
	s_nop 0                                                    // 00000000D758: BF800000
	v_cndmask_b32_e64 v115, v55, v115, s[40:41]                // 00000000D75C: D1000073 00A2E737
	v_cmp_le_u32_e64 s[40:41], v31, v39                        // 00000000D764: D0CB0028 00024F1F
	v_add_u32_e32 v31, 64, v31                                 // 00000000D76C: 683E3EC0
	s_nop 0                                                    // 00000000D770: BF800000
	v_cndmask_b32_e64 v116, v55, v116, s[40:41]                // 00000000D774: D1000074 00A2E937
	v_cmp_le_u32_e64 s[40:41], v32, v39                        // 00000000D77C: D0CB0028 00024F20
	v_add_u32_e32 v32, 64, v32                                 // 00000000D784: 684040C0
	s_nop 0                                                    // 00000000D788: BF800000
	v_cndmask_b32_e64 v117, v55, v117, s[40:41]                // 00000000D78C: D1000075 00A2EB37
	v_cmp_le_u32_e64 s[40:41], v33, v39                        // 00000000D794: D0CB0028 00024F21
	v_add_u32_e32 v33, 64, v33                                 // 00000000D79C: 684242C0
	s_nop 0                                                    // 00000000D7A0: BF800000
	v_cndmask_b32_e64 v118, v55, v118, s[40:41]                // 00000000D7A4: D1000076 00A2ED37
	v_cmp_le_u32_e64 s[40:41], v34, v39                        // 00000000D7AC: D0CB0028 00024F22
	v_add_u32_e32 v34, 64, v34                                 // 00000000D7B4: 684444C0
	s_nop 0                                                    // 00000000D7B8: BF800000
	v_cndmask_b32_e64 v119, v55, v119, s[40:41]                // 00000000D7BC: D1000077 00A2EF37
	v_cmp_le_u32_e64 s[40:41], v31, v39                        // 00000000D7C4: D0CB0028 00024F1F
	v_add_u32_e32 v31, 64, v31                                 // 00000000D7CC: 683E3EC0
	s_nop 0                                                    // 00000000D7D0: BF800000
	v_cndmask_b32_e64 v120, v55, v120, s[40:41]                // 00000000D7D4: D1000078 00A2F137
	v_cmp_le_u32_e64 s[40:41], v32, v39                        // 00000000D7DC: D0CB0028 00024F20
	v_add_u32_e32 v32, 64, v32                                 // 00000000D7E4: 684040C0
	s_nop 0                                                    // 00000000D7E8: BF800000
	v_cndmask_b32_e64 v121, v55, v121, s[40:41]                // 00000000D7EC: D1000079 00A2F337
	v_cmp_le_u32_e64 s[40:41], v33, v39                        // 00000000D7F4: D0CB0028 00024F21
	v_add_u32_e32 v33, 64, v33                                 // 00000000D7FC: 684242C0
	s_nop 0                                                    // 00000000D800: BF800000
	v_cndmask_b32_e64 v122, v55, v122, s[40:41]                // 00000000D804: D100007A 00A2F537
	v_cmp_le_u32_e64 s[40:41], v34, v39                        // 00000000D80C: D0CB0028 00024F22
	v_add_u32_e32 v34, 64, v34                                 // 00000000D814: 684444C0
	s_nop 0                                                    // 00000000D818: BF800000
	v_cndmask_b32_e64 v123, v55, v123, s[40:41]                // 00000000D81C: D100007B 00A2F737
	v_cmp_le_u32_e64 s[40:41], v31, v39                        // 00000000D824: D0CB0028 00024F1F
	v_add_u32_e32 v31, 64, v31                                 // 00000000D82C: 683E3EC0
	s_nop 0                                                    // 00000000D830: BF800000
	v_cndmask_b32_e64 v124, v55, v124, s[40:41]                // 00000000D834: D100007C 00A2F937
	v_cmp_le_u32_e64 s[40:41], v32, v39                        // 00000000D83C: D0CB0028 00024F20
	v_add_u32_e32 v32, 64, v32                                 // 00000000D844: 684040C0
	s_nop 0                                                    // 00000000D848: BF800000
	v_cndmask_b32_e64 v125, v55, v125, s[40:41]                // 00000000D84C: D100007D 00A2FB37
	v_cmp_le_u32_e64 s[40:41], v33, v39                        // 00000000D854: D0CB0028 00024F21
	v_add_u32_e32 v33, 64, v33                                 // 00000000D85C: 684242C0
	s_nop 0                                                    // 00000000D860: BF800000
	v_cndmask_b32_e64 v126, v55, v126, s[40:41]                // 00000000D864: D100007E 00A2FD37
	v_cmp_le_u32_e64 s[40:41], v34, v39                        // 00000000D86C: D0CB0028 00024F22
	v_add_u32_e32 v34, 64, v34                                 // 00000000D874: 684444C0
	s_nop 0                                                    // 00000000D878: BF800000
	v_cndmask_b32_e64 v127, v55, v127, s[40:41]                // 00000000D87C: D100007F 00A2FF37

000000000000d884 <label_2DA2>:
	s_waitcnt vmcnt(16) lgkmcnt(0)                             // 00000000D884: BF8C4070
	v_mfma_f32_16x16x16_bf16 v[144:147], a[0:1], v[96:97], 0   // 00000000D888: D3E10090 0A02C100
	v_mfma_f32_16x16x16_bf16 v[144:147], a[2:3], v[98:99], v[144:147]// 00000000D890: D3E10090 0E42C502
	v_mfma_f32_16x16x16_bf16 v[144:147], a[4:5], v[100:101], v[144:147]// 00000000D898: D3E10090 0E42C904
	v_mfma_f32_16x16x16_bf16 v[144:147], a[6:7], v[102:103], v[144:147]// 00000000D8A0: D3E10090 0E42CD06
	v_mfma_f32_16x16x16_bf16 v[144:147], a[8:9], v[104:105], v[144:147]// 00000000D8A8: D3E10090 0E42D108
	v_mfma_f32_16x16x16_bf16 v[144:147], a[10:11], v[106:107], v[144:147]// 00000000D8B0: D3E10090 0E42D50A
	v_mfma_f32_16x16x16_bf16 v[144:147], a[12:13], v[108:109], v[144:147]// 00000000D8B8: D3E10090 0E42D90C
	v_mfma_f32_16x16x16_bf16 v[144:147], a[14:15], v[110:111], v[144:147]// 00000000D8C0: D3E10090 0E42DD0E
	v_mfma_f32_16x16x16_bf16 v[148:151], a[16:17], v[96:97], 0 // 00000000D8C8: D3E10094 0A02C110
	v_mfma_f32_16x16x16_bf16 v[148:151], a[18:19], v[98:99], v[148:151]// 00000000D8D0: D3E10094 0E52C512
	v_mfma_f32_16x16x16_bf16 v[148:151], a[20:21], v[100:101], v[148:151]// 00000000D8D8: D3E10094 0E52C914
	v_mfma_f32_16x16x16_bf16 v[148:151], a[22:23], v[102:103], v[148:151]// 00000000D8E0: D3E10094 0E52CD16
	v_mfma_f32_16x16x16_bf16 v[148:151], a[24:25], v[104:105], v[148:151]// 00000000D8E8: D3E10094 0E52D118
	v_mfma_f32_16x16x16_bf16 v[148:151], a[26:27], v[106:107], v[148:151]// 00000000D8F0: D3E10094 0E52D51A
	v_mfma_f32_16x16x16_bf16 v[148:151], a[28:29], v[108:109], v[148:151]// 00000000D8F8: D3E10094 0E52D91C
	v_mfma_f32_16x16x16_bf16 v[148:151], a[30:31], v[110:111], v[148:151]// 00000000D900: D3E10094 0E52DD1E
	v_mfma_f32_16x16x16_bf16 v[152:155], a[32:33], v[96:97], 0 // 00000000D908: D3E10098 0A02C120
	v_mfma_f32_16x16x16_bf16 v[152:155], a[34:35], v[98:99], v[152:155]// 00000000D910: D3E10098 0E62C522
	v_mfma_f32_16x16x16_bf16 v[152:155], a[36:37], v[100:101], v[152:155]// 00000000D918: D3E10098 0E62C924
	v_mfma_f32_16x16x16_bf16 v[152:155], a[38:39], v[102:103], v[152:155]// 00000000D920: D3E10098 0E62CD26
	v_mfma_f32_16x16x16_bf16 v[152:155], a[40:41], v[104:105], v[152:155]// 00000000D928: D3E10098 0E62D128
	v_mfma_f32_16x16x16_bf16 v[152:155], a[42:43], v[106:107], v[152:155]// 00000000D930: D3E10098 0E62D52A
	v_mfma_f32_16x16x16_bf16 v[152:155], a[44:45], v[108:109], v[152:155]// 00000000D938: D3E10098 0E62D92C
	v_mfma_f32_16x16x16_bf16 v[152:155], a[46:47], v[110:111], v[152:155]// 00000000D940: D3E10098 0E62DD2E
	v_mfma_f32_16x16x16_bf16 v[156:159], a[48:49], v[96:97], 0 // 00000000D948: D3E1009C 0A02C130
	v_mfma_f32_16x16x16_bf16 v[156:159], a[50:51], v[98:99], v[156:159]// 00000000D950: D3E1009C 0E72C532
	v_mfma_f32_16x16x16_bf16 v[156:159], a[52:53], v[100:101], v[156:159]// 00000000D958: D3E1009C 0E72C934
	v_mfma_f32_16x16x16_bf16 v[156:159], a[54:55], v[102:103], v[156:159]// 00000000D960: D3E1009C 0E72CD36
	v_mfma_f32_16x16x16_bf16 v[156:159], a[56:57], v[104:105], v[156:159]// 00000000D968: D3E1009C 0E72D138
	v_mfma_f32_16x16x16_bf16 v[156:159], a[58:59], v[106:107], v[156:159]// 00000000D970: D3E1009C 0E72D53A
	v_mfma_f32_16x16x16_bf16 v[156:159], a[60:61], v[108:109], v[156:159]// 00000000D978: D3E1009C 0E72D93C
	v_mfma_f32_16x16x16_bf16 v[156:159], a[62:63], v[110:111], v[156:159]// 00000000D980: D3E1009C 0E72DD3E
	s_cmp_le_i32 s90, s89                                      // 00000000D988: BF05595A
	s_cbranch_scc1 label_2E58                                  // 00000000D98C: BF850073
	v_mov_b32_e32 v55, 0xff800000                              // 00000000D990: 7E6E02FF FF800000
	s_mov_b32 s60, s90                                         // 00000000D998: BEBC005A
	s_add_u32 s61, s89, 0xff                                   // 00000000D99C: 803DFF59 000000FF
	v_mov_b32_e32 v39, s61                                     // 00000000D9A4: 7E4E023D
	v_lshrrev_b32_e32 v31, 4, v0                               // 00000000D9A8: 203E0084
	v_mul_i32_i24_e32 v31, 4, v31                              // 00000000D9AC: 0C3E3E84
	v_add_u32_e32 v31, s60, v31                                // 00000000D9B0: 683E3E3C
	v_and_b32_e32 v40, 15, v0                                  // 00000000D9B4: 2650008F
	v_lshrrev_b32_e32 v40, 3, v40                              // 00000000D9B8: 20505083
	s_mov_b32 s61, 2                                           // 00000000D9BC: BEBD0082
	s_mul_i32 s60, 16, s7                                      // 00000000D9C0: 923C0790
	v_add_u32_e32 v40, s61, v40                                // 00000000D9C4: 6850503D
	v_sub_u32_e32 v31, v31, v40                                // 00000000D9C8: 6A3E511F
	v_add_u32_e32 v31, s60, v31                                // 00000000D9CC: 683E3E3C
	v_add_u32_e32 v32, 1, v31                                  // 00000000D9D0: 68403E81
	v_add_u32_e32 v33, 2, v31                                  // 00000000D9D4: 68423E82
	v_add_u32_e32 v34, 3, v31                                  // 00000000D9D8: 68443E83
	v_cmp_le_u32_e64 s[40:41], v31, v39                        // 00000000D9DC: D0CB0028 00024F1F
	v_add_u32_e32 v31, 64, v31                                 // 00000000D9E4: 683E3EC0
	s_nop 0                                                    // 00000000D9E8: BF800000
	v_cndmask_b32_e64 v144, v55, v144, s[40:41]                // 00000000D9EC: D1000090 00A32137
	v_cmp_le_u32_e64 s[40:41], v32, v39                        // 00000000D9F4: D0CB0028 00024F20
	v_add_u32_e32 v32, 64, v32                                 // 00000000D9FC: 684040C0
	s_nop 0                                                    // 00000000DA00: BF800000
	v_cndmask_b32_e64 v145, v55, v145, s[40:41]                // 00000000DA04: D1000091 00A32337
	v_cmp_le_u32_e64 s[40:41], v33, v39                        // 00000000DA0C: D0CB0028 00024F21
	v_add_u32_e32 v33, 64, v33                                 // 00000000DA14: 684242C0
	s_nop 0                                                    // 00000000DA18: BF800000
	v_cndmask_b32_e64 v146, v55, v146, s[40:41]                // 00000000DA1C: D1000092 00A32537
	v_cmp_le_u32_e64 s[40:41], v34, v39                        // 00000000DA24: D0CB0028 00024F22
	v_add_u32_e32 v34, 64, v34                                 // 00000000DA2C: 684444C0
	s_nop 0                                                    // 00000000DA30: BF800000
	v_cndmask_b32_e64 v147, v55, v147, s[40:41]                // 00000000DA34: D1000093 00A32737
	v_cmp_le_u32_e64 s[40:41], v31, v39                        // 00000000DA3C: D0CB0028 00024F1F
	v_add_u32_e32 v31, 64, v31                                 // 00000000DA44: 683E3EC0
	s_nop 0                                                    // 00000000DA48: BF800000
	v_cndmask_b32_e64 v148, v55, v148, s[40:41]                // 00000000DA4C: D1000094 00A32937
	v_cmp_le_u32_e64 s[40:41], v32, v39                        // 00000000DA54: D0CB0028 00024F20
	v_add_u32_e32 v32, 64, v32                                 // 00000000DA5C: 684040C0
	s_nop 0                                                    // 00000000DA60: BF800000
	v_cndmask_b32_e64 v149, v55, v149, s[40:41]                // 00000000DA64: D1000095 00A32B37
	v_cmp_le_u32_e64 s[40:41], v33, v39                        // 00000000DA6C: D0CB0028 00024F21
	v_add_u32_e32 v33, 64, v33                                 // 00000000DA74: 684242C0
	s_nop 0                                                    // 00000000DA78: BF800000
	v_cndmask_b32_e64 v150, v55, v150, s[40:41]                // 00000000DA7C: D1000096 00A32D37
	v_cmp_le_u32_e64 s[40:41], v34, v39                        // 00000000DA84: D0CB0028 00024F22
	v_add_u32_e32 v34, 64, v34                                 // 00000000DA8C: 684444C0
	s_nop 0                                                    // 00000000DA90: BF800000
	v_cndmask_b32_e64 v151, v55, v151, s[40:41]                // 00000000DA94: D1000097 00A32F37
	v_cmp_le_u32_e64 s[40:41], v31, v39                        // 00000000DA9C: D0CB0028 00024F1F
	v_add_u32_e32 v31, 64, v31                                 // 00000000DAA4: 683E3EC0
	s_nop 0                                                    // 00000000DAA8: BF800000
	v_cndmask_b32_e64 v152, v55, v152, s[40:41]                // 00000000DAAC: D1000098 00A33137
	v_cmp_le_u32_e64 s[40:41], v32, v39                        // 00000000DAB4: D0CB0028 00024F20
	v_add_u32_e32 v32, 64, v32                                 // 00000000DABC: 684040C0
	s_nop 0                                                    // 00000000DAC0: BF800000
	v_cndmask_b32_e64 v153, v55, v153, s[40:41]                // 00000000DAC4: D1000099 00A33337
	v_cmp_le_u32_e64 s[40:41], v33, v39                        // 00000000DACC: D0CB0028 00024F21
	v_add_u32_e32 v33, 64, v33                                 // 00000000DAD4: 684242C0
	s_nop 0                                                    // 00000000DAD8: BF800000
	v_cndmask_b32_e64 v154, v55, v154, s[40:41]                // 00000000DADC: D100009A 00A33537
	v_cmp_le_u32_e64 s[40:41], v34, v39                        // 00000000DAE4: D0CB0028 00024F22
	v_add_u32_e32 v34, 64, v34                                 // 00000000DAEC: 684444C0
	s_nop 0                                                    // 00000000DAF0: BF800000
	v_cndmask_b32_e64 v155, v55, v155, s[40:41]                // 00000000DAF4: D100009B 00A33737
	v_cmp_le_u32_e64 s[40:41], v31, v39                        // 00000000DAFC: D0CB0028 00024F1F
	v_add_u32_e32 v31, 64, v31                                 // 00000000DB04: 683E3EC0
	s_nop 0                                                    // 00000000DB08: BF800000
	v_cndmask_b32_e64 v156, v55, v156, s[40:41]                // 00000000DB0C: D100009C 00A33937
	v_cmp_le_u32_e64 s[40:41], v32, v39                        // 00000000DB14: D0CB0028 00024F20
	v_add_u32_e32 v32, 64, v32                                 // 00000000DB1C: 684040C0
	s_nop 0                                                    // 00000000DB20: BF800000
	v_cndmask_b32_e64 v157, v55, v157, s[40:41]                // 00000000DB24: D100009D 00A33B37
	v_cmp_le_u32_e64 s[40:41], v33, v39                        // 00000000DB2C: D0CB0028 00024F21
	v_add_u32_e32 v33, 64, v33                                 // 00000000DB34: 684242C0
	s_nop 0                                                    // 00000000DB38: BF800000
	v_cndmask_b32_e64 v158, v55, v158, s[40:41]                // 00000000DB3C: D100009E 00A33D37
	v_cmp_le_u32_e64 s[40:41], v34, v39                        // 00000000DB44: D0CB0028 00024F22
	v_add_u32_e32 v34, 64, v34                                 // 00000000DB4C: 684444C0
	s_nop 0                                                    // 00000000DB50: BF800000
	v_cndmask_b32_e64 v159, v55, v159, s[40:41]                // 00000000DB54: D100009F 00A33F37

000000000000db5c <label_2E58>:
	s_add_u32 s90, s91, s90                                    // 00000000DB5C: 805A5A5B
	s_nop 0                                                    // 00000000DB60: BF800000
	buffer_load_dwordx4 a[96:99], v29, s[16:19], 0 offen       // 00000000DB64: E05C1000 8084601D
	s_nop 8                                                    // 00000000DB6C: BF800008
	buffer_load_dwordx4 a[100:103], v29, s[16:19], 0 offen offset:1024// 00000000DB70: E05C1400 8084641D
	v_mov_b32_e32 v50, v112                                    // 00000000DB78: 7E640370
	v_max3_f32 v50, v112, v113, v50                            // 00000000DB7C: D1D30032 04CAE370
	v_max3_f32 v50, v114, v115, v50                            // 00000000DB84: D1D30032 04CAE772
	v_max3_f32 v50, v116, v117, v50                            // 00000000DB8C: D1D30032 04CAEB74
	v_max3_f32 v50, v118, v119, v50                            // 00000000DB94: D1D30032 04CAEF76
	v_max3_f32 v50, v120, v121, v50                            // 00000000DB9C: D1D30032 04CAF378
	v_max3_f32 v50, v122, v123, v50                            // 00000000DBA4: D1D30032 04CAF77A
	v_max3_f32 v50, v124, v125, v50                            // 00000000DBAC: D1D30032 04CAFB7C
	v_max3_f32 v50, v126, v127, v50                            // 00000000DBB4: D1D30032 04CAFF7E
	ds_write_b32 v11, v50                                      // 00000000DBBC: D81A0000 0000320B
	buffer_load_dwordx4 a[104:107], v29, s[16:19], 0 offen offset:2048// 00000000DBC4: E05C1800 8084681D
	s_waitcnt lgkmcnt(0)                                       // 00000000DBCC: BF8CC07F
	s_barrier                                                  // 00000000DBD0: BF8A0000
	ds_read_b32 v64, v10                                       // 00000000DBD4: D86C0000 4000000A
	buffer_load_dwordx4 a[108:111], v29, s[16:19], 0 offen offset:3072// 00000000DBDC: E05C1C00 80846C1D
	ds_read_b32 v65, v10 offset:64                             // 00000000DBE4: D86C0040 4100000A
	ds_read_b32 v66, v10 offset:128                            // 00000000DBEC: D86C0080 4200000A
	ds_read_b32 v67, v10 offset:192                            // 00000000DBF4: D86C00C0 4300000A
	ds_read_b32 v68, v10 offset:256                            // 00000000DBFC: D86C0100 4400000A
	ds_read_b32 v69, v10 offset:320                            // 00000000DC04: D86C0140 4500000A
	ds_read_b32 v70, v10 offset:384                            // 00000000DC0C: D86C0180 4600000A
	ds_read_b32 v71, v10 offset:448                            // 00000000DC14: D86C01C0 4700000A
	ds_read_b32 v72, v10 offset:512                            // 00000000DC1C: D86C0200 4800000A
	buffer_load_dwordx4 a[112:115], v30, s[16:19], 0 offen     // 00000000DC24: E05C1000 8084701E
	ds_read_b32 v73, v10 offset:576                            // 00000000DC2C: D86C0240 4900000A
	ds_read_b32 v74, v10 offset:640                            // 00000000DC34: D86C0280 4A00000A
	ds_read_b32 v75, v10 offset:704                            // 00000000DC3C: D86C02C0 4B00000A
	ds_read_b32 v76, v10 offset:768                            // 00000000DC44: D86C0300 4C00000A
	ds_read_b32 v77, v10 offset:832                            // 00000000DC4C: D86C0340 4D00000A
	ds_read_b32 v78, v10 offset:896                            // 00000000DC54: D86C0380 4E00000A
	ds_read_b32 v79, v10 offset:960                            // 00000000DC5C: D86C03C0 4F00000A
	buffer_load_dwordx4 a[116:119], v30, s[16:19], 0 offen offset:1024// 00000000DC64: E05C1400 8084741E
	buffer_load_dwordx4 a[120:123], v30, s[16:19], 0 offen offset:2048// 00000000DC6C: E05C1800 8084781E
	s_waitcnt lgkmcnt(0)                                       // 00000000DC74: BF8CC07F
	v_max3_f32 v50, v64, v65, v50                              // 00000000DC78: D1D30032 04CA8340
	v_max3_f32 v50, v66, v67, v50                              // 00000000DC80: D1D30032 04CA8742
	v_max3_f32 v50, v68, v69, v50                              // 00000000DC88: D1D30032 04CA8B44
	v_max3_f32 v50, v70, v71, v50                              // 00000000DC90: D1D30032 04CA8F46
	v_max3_f32 v50, v72, v73, v50                              // 00000000DC98: D1D30032 04CA9348
	v_max3_f32 v50, v74, v75, v50                              // 00000000DCA0: D1D30032 04CA974A
	v_max3_f32 v50, v76, v77, v50                              // 00000000DCA8: D1D30032 04CA9B4C
	v_max3_f32 v50, v78, v79, v50                              // 00000000DCB0: D1D30032 04CA9F4E
	buffer_load_dwordx4 a[124:127], v30, s[16:19], 0 offen offset:3072// 00000000DCB8: E05C1C00 80847C1E
	v_cmp_eq_u32_e64 s[40:41], v55, v14                        // 00000000DCC0: D0CA0028 00021D37
	s_nop 1                                                    // 00000000DCC8: BF800001
	v_max_f32_e32 v16, v50, v14                                // 00000000DCCC: 16201D32
	v_sub_f32_e32 v51, v14, v16                                // 00000000DCD0: 0466210E
	v_cndmask_b32_e64 v51, v51, 0, s[40:41]                    // 00000000DCD4: D1000033 00A10133
	v_mov_b32_e32 v14, v16                                     // 00000000DCDC: 7E1C0310
	v_mul_f32_e32 v53, s64, v16                                // 00000000DCE0: 0A6A2040
	v_mul_f32_e32 v51, s64, v51                                // 00000000DCE4: 0A666640
	v_exp_f32_e32 v51, v51                                     // 00000000DCE8: 7E664133
	buffer_load_dwordx4 a[192:195], v200, s[20:23], 0 offen    // 00000000DCEC: E05C1000 8085C0C8
	v_fma_f32 v112, v112, s64, -v53                            // 00000000DCF4: D1CB0070 84D48170
	v_fma_f32 v113, v113, s64, -v53                            // 00000000DCFC: D1CB0071 84D48171
	v_fma_f32 v114, v114, s64, -v53                            // 00000000DD04: D1CB0072 84D48172
	v_fma_f32 v115, v115, s64, -v53                            // 00000000DD0C: D1CB0073 84D48173
	v_fma_f32 v116, v116, s64, -v53                            // 00000000DD14: D1CB0074 84D48174
	v_fma_f32 v117, v117, s64, -v53                            // 00000000DD1C: D1CB0075 84D48175
	v_fma_f32 v118, v118, s64, -v53                            // 00000000DD24: D1CB0076 84D48176
	v_fma_f32 v119, v119, s64, -v53                            // 00000000DD2C: D1CB0077 84D48177
	v_fma_f32 v120, v120, s64, -v53                            // 00000000DD34: D1CB0078 84D48178
	v_fma_f32 v121, v121, s64, -v53                            // 00000000DD3C: D1CB0079 84D48179
	v_fma_f32 v122, v122, s64, -v53                            // 00000000DD44: D1CB007A 84D4817A
	v_fma_f32 v123, v123, s64, -v53                            // 00000000DD4C: D1CB007B 84D4817B
	v_fma_f32 v124, v124, s64, -v53                            // 00000000DD54: D1CB007C 84D4817C
	v_fma_f32 v125, v125, s64, -v53                            // 00000000DD5C: D1CB007D 84D4817D
	v_fma_f32 v126, v126, s64, -v53                            // 00000000DD64: D1CB007E 84D4817E
	v_fma_f32 v127, v127, s64, -v53                            // 00000000DD6C: D1CB007F 84D4817F
	v_exp_f32_e32 v112, v112                                   // 00000000DD74: 7EE04170
	v_exp_f32_e32 v113, v113                                   // 00000000DD78: 7EE24171
	v_exp_f32_e32 v114, v114                                   // 00000000DD7C: 7EE44172
	v_exp_f32_e32 v115, v115                                   // 00000000DD80: 7EE64173
	v_exp_f32_e32 v116, v116                                   // 00000000DD84: 7EE84174
	v_exp_f32_e32 v117, v117                                   // 00000000DD88: 7EEA4175
	v_exp_f32_e32 v118, v118                                   // 00000000DD8C: 7EEC4176
	v_exp_f32_e32 v119, v119                                   // 00000000DD90: 7EEE4177
	v_exp_f32_e32 v120, v120                                   // 00000000DD94: 7EF04178
	v_exp_f32_e32 v121, v121                                   // 00000000DD98: 7EF24179
	v_exp_f32_e32 v122, v122                                   // 00000000DD9C: 7EF4417A
	v_exp_f32_e32 v123, v123                                   // 00000000DDA0: 7EF6417B
	v_exp_f32_e32 v124, v124                                   // 00000000DDA4: 7EF8417C
	v_exp_f32_e32 v125, v125                                   // 00000000DDA8: 7EFA417D
	v_exp_f32_e32 v126, v126                                   // 00000000DDAC: 7EFC417E
	v_exp_f32_e32 v127, v127                                   // 00000000DDB0: 7EFE417F
	buffer_load_dwordx4 a[196:199], v201, s[20:23], 0 offen    // 00000000DDB4: E05C1000 8085C4C9
	v_mul_f32_e32 v43, v51, v43                                // 00000000DDBC: 0A565733
	v_mov_b32_e32 v45, v112                                    // 00000000DDC0: 7E5A0370
	v_add_f32_e32 v45, v113, v45                               // 00000000DDC4: 025A5B71
	v_add_f32_e32 v45, v114, v45                               // 00000000DDC8: 025A5B72
	v_add_f32_e32 v45, v115, v45                               // 00000000DDCC: 025A5B73
	v_add_f32_e32 v45, v116, v45                               // 00000000DDD0: 025A5B74
	v_add_f32_e32 v45, v117, v45                               // 00000000DDD4: 025A5B75
	v_add_f32_e32 v45, v118, v45                               // 00000000DDD8: 025A5B76
	v_add_f32_e32 v45, v119, v45                               // 00000000DDDC: 025A5B77
	v_add_f32_e32 v45, v120, v45                               // 00000000DDE0: 025A5B78
	v_add_f32_e32 v45, v121, v45                               // 00000000DDE4: 025A5B79
	v_add_f32_e32 v45, v122, v45                               // 00000000DDE8: 025A5B7A
	v_add_f32_e32 v45, v123, v45                               // 00000000DDEC: 025A5B7B
	v_add_f32_e32 v45, v124, v45                               // 00000000DDF0: 025A5B7C
	v_add_f32_e32 v45, v125, v45                               // 00000000DDF4: 025A5B7D
	v_add_f32_e32 v45, v126, v45                               // 00000000DDF8: 025A5B7E
	v_add_f32_e32 v45, v127, v45                               // 00000000DDFC: 025A5B7F
	v_add_f32_e32 v43, v45, v43                                // 00000000DE00: 0256572D
	buffer_load_dwordx4 a[200:203], v202, s[20:23], 0 offen    // 00000000DE04: E05C1000 8085C8CA
	v_cmp_u_f32_e64 s[40:41], v112, v112                       // 00000000DE0C: D0480028 0002E170
	v_add3_u32 v19, v112, v22, 1                               // 00000000DE14: D1FF0013 02062D70
	v_cndmask_b32_e64 v39, v19, v21, s[40:41]                  // 00000000DE1C: D1000027 00A22B13
	v_cmp_u_f32_e64 s[40:41], v113, v113                       // 00000000DE24: D0480028 0002E371
	v_add3_u32 v19, v113, v22, 1                               // 00000000DE2C: D1FF0013 02062D71
	v_cndmask_b32_e64 v40, v19, v21, s[40:41]                  // 00000000DE34: D1000028 00A22B13
	v_perm_b32 v112, v40, v39, s52                             // 00000000DE3C: D1ED0070 00D24F28
	v_cmp_u_f32_e64 s[40:41], v114, v114                       // 00000000DE44: D0480028 0002E572
	v_add3_u32 v19, v114, v22, 1                               // 00000000DE4C: D1FF0013 02062D72
	v_cndmask_b32_e64 v39, v19, v21, s[40:41]                  // 00000000DE54: D1000027 00A22B13
	v_cmp_u_f32_e64 s[40:41], v115, v115                       // 00000000DE5C: D0480028 0002E773
	v_add3_u32 v19, v115, v22, 1                               // 00000000DE64: D1FF0013 02062D73
	v_cndmask_b32_e64 v40, v19, v21, s[40:41]                  // 00000000DE6C: D1000028 00A22B13
	v_perm_b32 v113, v40, v39, s52                             // 00000000DE74: D1ED0071 00D24F28
	v_cmp_u_f32_e64 s[40:41], v116, v116                       // 00000000DE7C: D0480028 0002E974
	v_add3_u32 v19, v116, v22, 1                               // 00000000DE84: D1FF0013 02062D74
	v_cndmask_b32_e64 v39, v19, v21, s[40:41]                  // 00000000DE8C: D1000027 00A22B13
	v_cmp_u_f32_e64 s[40:41], v117, v117                       // 00000000DE94: D0480028 0002EB75
	v_add3_u32 v19, v117, v22, 1                               // 00000000DE9C: D1FF0013 02062D75
	v_cndmask_b32_e64 v40, v19, v21, s[40:41]                  // 00000000DEA4: D1000028 00A22B13
	v_perm_b32 v114, v40, v39, s52                             // 00000000DEAC: D1ED0072 00D24F28
	v_cmp_u_f32_e64 s[40:41], v118, v118                       // 00000000DEB4: D0480028 0002ED76
	v_add3_u32 v19, v118, v22, 1                               // 00000000DEBC: D1FF0013 02062D76
	v_cndmask_b32_e64 v39, v19, v21, s[40:41]                  // 00000000DEC4: D1000027 00A22B13
	v_cmp_u_f32_e64 s[40:41], v119, v119                       // 00000000DECC: D0480028 0002EF77
	v_add3_u32 v19, v119, v22, 1                               // 00000000DED4: D1FF0013 02062D77
	v_cndmask_b32_e64 v40, v19, v21, s[40:41]                  // 00000000DEDC: D1000028 00A22B13
	v_perm_b32 v115, v40, v39, s52                             // 00000000DEE4: D1ED0073 00D24F28
	v_cmp_u_f32_e64 s[40:41], v120, v120                       // 00000000DEEC: D0480028 0002F178
	v_add3_u32 v19, v120, v22, 1                               // 00000000DEF4: D1FF0013 02062D78
	v_cndmask_b32_e64 v39, v19, v21, s[40:41]                  // 00000000DEFC: D1000027 00A22B13
	v_cmp_u_f32_e64 s[40:41], v121, v121                       // 00000000DF04: D0480028 0002F379
	v_add3_u32 v19, v121, v22, 1                               // 00000000DF0C: D1FF0013 02062D79
	v_cndmask_b32_e64 v40, v19, v21, s[40:41]                  // 00000000DF14: D1000028 00A22B13
	v_perm_b32 v116, v40, v39, s52                             // 00000000DF1C: D1ED0074 00D24F28
	v_cmp_u_f32_e64 s[40:41], v122, v122                       // 00000000DF24: D0480028 0002F57A
	v_add3_u32 v19, v122, v22, 1                               // 00000000DF2C: D1FF0013 02062D7A
	v_cndmask_b32_e64 v39, v19, v21, s[40:41]                  // 00000000DF34: D1000027 00A22B13
	v_cmp_u_f32_e64 s[40:41], v123, v123                       // 00000000DF3C: D0480028 0002F77B
	v_add3_u32 v19, v123, v22, 1                               // 00000000DF44: D1FF0013 02062D7B
	v_cndmask_b32_e64 v40, v19, v21, s[40:41]                  // 00000000DF4C: D1000028 00A22B13
	v_perm_b32 v117, v40, v39, s52                             // 00000000DF54: D1ED0075 00D24F28
	v_cmp_u_f32_e64 s[40:41], v124, v124                       // 00000000DF5C: D0480028 0002F97C
	v_add3_u32 v19, v124, v22, 1                               // 00000000DF64: D1FF0013 02062D7C
	v_cndmask_b32_e64 v39, v19, v21, s[40:41]                  // 00000000DF6C: D1000027 00A22B13
	v_cmp_u_f32_e64 s[40:41], v125, v125                       // 00000000DF74: D0480028 0002FB7D
	v_add3_u32 v19, v125, v22, 1                               // 00000000DF7C: D1FF0013 02062D7D
	v_cndmask_b32_e64 v40, v19, v21, s[40:41]                  // 00000000DF84: D1000028 00A22B13
	v_perm_b32 v118, v40, v39, s52                             // 00000000DF8C: D1ED0076 00D24F28
	v_cmp_u_f32_e64 s[40:41], v126, v126                       // 00000000DF94: D0480028 0002FD7E
	v_add3_u32 v19, v126, v22, 1                               // 00000000DF9C: D1FF0013 02062D7E
	v_cndmask_b32_e64 v39, v19, v21, s[40:41]                  // 00000000DFA4: D1000027 00A22B13
	v_cmp_u_f32_e64 s[40:41], v127, v127                       // 00000000DFAC: D0480028 0002FF7F
	v_add3_u32 v19, v127, v22, 1                               // 00000000DFB4: D1FF0013 02062D7F
	v_cndmask_b32_e64 v40, v19, v21, s[40:41]                  // 00000000DFBC: D1000028 00A22B13
	v_perm_b32 v119, v40, v39, s52                             // 00000000DFC4: D1ED0077 00D24F28
	buffer_load_dwordx4 a[204:207], v203, s[20:23], 0 offen    // 00000000DFCC: E05C1000 8085CCCB
	buffer_load_dwordx4 a[208:211], v204, s[20:23], 0 offen    // 00000000DFD4: E05C1000 8085D0CC
	ds_write_b64 v13, v[112:113] offset:4096                   // 00000000DFDC: D89A1000 0000700D
	ds_write_b64 v13, v[114:115] offset:6144                   // 00000000DFE4: D89A1800 0000720D
	ds_write_b64 v13, v[116:117] offset:8192                   // 00000000DFEC: D89A2000 0000740D
	ds_write_b64 v13, v[118:119] offset:10240                  // 00000000DFF4: D89A2800 0000760D
	buffer_load_dwordx4 a[212:215], v205, s[20:23], 0 offen    // 00000000DFFC: E05C1000 8085D4CD
	s_waitcnt lgkmcnt(0)                                       // 00000000E004: BF8CC07F
	s_barrier                                                  // 00000000E008: BF8A0000
	ds_read_b64 v[112:113], v12 offset:4096                    // 00000000E00C: D8EC1000 7000000C
	ds_read_b64 v[114:115], v12 offset:4224                    // 00000000E014: D8EC1080 7200000C
	ds_read_b64 v[116:117], v12 offset:5120                    // 00000000E01C: D8EC1400 7400000C
	ds_read_b64 v[118:119], v12 offset:5248                    // 00000000E024: D8EC1480 7600000C
	ds_read_b64 v[120:121], v12 offset:6144                    // 00000000E02C: D8EC1800 7800000C
	ds_read_b64 v[122:123], v12 offset:6272                    // 00000000E034: D8EC1880 7A00000C
	ds_read_b64 v[124:125], v12 offset:7168                    // 00000000E03C: D8EC1C00 7C00000C
	ds_read_b64 v[126:127], v12 offset:7296                    // 00000000E044: D8EC1C80 7E00000C
	ds_read_b64 v[128:129], v12 offset:8192                    // 00000000E04C: D8EC2000 8000000C
	ds_read_b64 v[130:131], v12 offset:8320                    // 00000000E054: D8EC2080 8200000C
	ds_read_b64 v[132:133], v12 offset:9216                    // 00000000E05C: D8EC2400 8400000C
	ds_read_b64 v[134:135], v12 offset:9344                    // 00000000E064: D8EC2480 8600000C
	ds_read_b64 v[136:137], v12 offset:10240                   // 00000000E06C: D8EC2800 8800000C
	ds_read_b64 v[138:139], v12 offset:10368                   // 00000000E074: D8EC2880 8A00000C
	ds_read_b64 v[140:141], v12 offset:11264                   // 00000000E07C: D8EC2C00 8C00000C
	ds_read_b64 v[142:143], v12 offset:11392                   // 00000000E084: D8EC2C80 8E00000C
	buffer_load_dwordx4 a[216:219], v206, s[20:23], 0 offen    // 00000000E08C: E05C1000 8085D8CE
	buffer_load_dwordx4 a[220:223], v207, s[20:23], 0 offen    // 00000000E094: E05C1000 8085DCCF
	s_waitcnt lgkmcnt(0)                                       // 00000000E09C: BF8CC07F
	s_nop 8                                                    // 00000000E0A0: BF800008
	v_mov_b32_e32 v50, v144                                    // 00000000E0A4: 7E640390
	v_max3_f32 v50, v144, v145, v50                            // 00000000E0A8: D1D30032 04CB2390
	v_max3_f32 v50, v146, v147, v50                            // 00000000E0B0: D1D30032 04CB2792
	v_max3_f32 v50, v148, v149, v50                            // 00000000E0B8: D1D30032 04CB2B94
	v_max3_f32 v50, v150, v151, v50                            // 00000000E0C0: D1D30032 04CB2F96
	v_max3_f32 v50, v152, v153, v50                            // 00000000E0C8: D1D30032 04CB3398
	v_max3_f32 v50, v154, v155, v50                            // 00000000E0D0: D1D30032 04CB379A
	v_max3_f32 v50, v156, v157, v50                            // 00000000E0D8: D1D30032 04CB3B9C
	v_max3_f32 v50, v158, v159, v50                            // 00000000E0E0: D1D30032 04CB3F9E
	ds_write_b32 v11, v50                                      // 00000000E0E8: D81A0000 0000320B
	s_waitcnt lgkmcnt(0)                                       // 00000000E0F0: BF8CC07F
	s_barrier                                                  // 00000000E0F4: BF8A0000
	ds_read_b32 v64, v10                                       // 00000000E0F8: D86C0000 4000000A
	ds_read_b32 v65, v10 offset:64                             // 00000000E100: D86C0040 4100000A
	ds_read_b32 v66, v10 offset:128                            // 00000000E108: D86C0080 4200000A
	ds_read_b32 v67, v10 offset:192                            // 00000000E110: D86C00C0 4300000A
	ds_read_b32 v68, v10 offset:256                            // 00000000E118: D86C0100 4400000A
	ds_read_b32 v69, v10 offset:320                            // 00000000E120: D86C0140 4500000A
	ds_read_b32 v70, v10 offset:384                            // 00000000E128: D86C0180 4600000A
	ds_read_b32 v71, v10 offset:448                            // 00000000E130: D86C01C0 4700000A
	ds_read_b32 v72, v10 offset:512                            // 00000000E138: D86C0200 4800000A
	ds_read_b32 v73, v10 offset:576                            // 00000000E140: D86C0240 4900000A
	ds_read_b32 v74, v10 offset:640                            // 00000000E148: D86C0280 4A00000A
	ds_read_b32 v75, v10 offset:704                            // 00000000E150: D86C02C0 4B00000A
	ds_read_b32 v76, v10 offset:768                            // 00000000E158: D86C0300 4C00000A
	ds_read_b32 v77, v10 offset:832                            // 00000000E160: D86C0340 4D00000A
	ds_read_b32 v78, v10 offset:896                            // 00000000E168: D86C0380 4E00000A
	ds_read_b32 v79, v10 offset:960                            // 00000000E170: D86C03C0 4F00000A
	s_waitcnt lgkmcnt(0)                                       // 00000000E178: BF8CC07F
	v_max3_f32 v50, v64, v65, v50                              // 00000000E17C: D1D30032 04CA8340
	v_max3_f32 v50, v66, v67, v50                              // 00000000E184: D1D30032 04CA8742
	v_max3_f32 v50, v68, v69, v50                              // 00000000E18C: D1D30032 04CA8B44
	v_max3_f32 v50, v70, v71, v50                              // 00000000E194: D1D30032 04CA8F46
	v_max3_f32 v50, v72, v73, v50                              // 00000000E19C: D1D30032 04CA9348
	v_max3_f32 v50, v74, v75, v50                              // 00000000E1A4: D1D30032 04CA974A
	v_max3_f32 v50, v76, v77, v50                              // 00000000E1AC: D1D30032 04CA9B4C
	v_max3_f32 v50, v78, v79, v50                              // 00000000E1B4: D1D30032 04CA9F4E
	v_cmp_eq_u32_e64 s[40:41], v55, v15                        // 00000000E1BC: D0CA0028 00021F37
	s_nop 1                                                    // 00000000E1C4: BF800001
	v_max_f32_e32 v16, v50, v15                                // 00000000E1C8: 16201F32
	v_sub_f32_e32 v52, v15, v16                                // 00000000E1CC: 0468210F
	v_cndmask_b32_e64 v52, v52, 0, s[40:41]                    // 00000000E1D0: D1000034 00A10134
	v_mov_b32_e32 v15, v16                                     // 00000000E1D8: 7E1E0310
	v_mul_f32_e32 v53, s64, v16                                // 00000000E1DC: 0A6A2040
	v_mul_f32_e32 v52, s64, v52                                // 00000000E1E0: 0A686840
	v_exp_f32_e32 v52, v52                                     // 00000000E1E4: 7E684134
	v_fma_f32 v144, v144, s64, -v53                            // 00000000E1E8: D1CB0090 84D48190
	v_fma_f32 v145, v145, s64, -v53                            // 00000000E1F0: D1CB0091 84D48191
	v_fma_f32 v146, v146, s64, -v53                            // 00000000E1F8: D1CB0092 84D48192
	v_fma_f32 v147, v147, s64, -v53                            // 00000000E200: D1CB0093 84D48193
	v_fma_f32 v148, v148, s64, -v53                            // 00000000E208: D1CB0094 84D48194
	v_fma_f32 v149, v149, s64, -v53                            // 00000000E210: D1CB0095 84D48195
	v_fma_f32 v150, v150, s64, -v53                            // 00000000E218: D1CB0096 84D48196
	v_fma_f32 v151, v151, s64, -v53                            // 00000000E220: D1CB0097 84D48197
	v_fma_f32 v152, v152, s64, -v53                            // 00000000E228: D1CB0098 84D48198
	v_fma_f32 v153, v153, s64, -v53                            // 00000000E230: D1CB0099 84D48199
	v_fma_f32 v154, v154, s64, -v53                            // 00000000E238: D1CB009A 84D4819A
	v_fma_f32 v155, v155, s64, -v53                            // 00000000E240: D1CB009B 84D4819B
	v_fma_f32 v156, v156, s64, -v53                            // 00000000E248: D1CB009C 84D4819C
	v_fma_f32 v157, v157, s64, -v53                            // 00000000E250: D1CB009D 84D4819D
	v_fma_f32 v158, v158, s64, -v53                            // 00000000E258: D1CB009E 84D4819E
	v_fma_f32 v159, v159, s64, -v53                            // 00000000E260: D1CB009F 84D4819F
	v_exp_f32_e32 v144, v144                                   // 00000000E268: 7F204190
	v_exp_f32_e32 v145, v145                                   // 00000000E26C: 7F224191
	v_exp_f32_e32 v146, v146                                   // 00000000E270: 7F244192
	v_exp_f32_e32 v147, v147                                   // 00000000E274: 7F264193
	v_exp_f32_e32 v148, v148                                   // 00000000E278: 7F284194
	v_exp_f32_e32 v149, v149                                   // 00000000E27C: 7F2A4195
	v_exp_f32_e32 v150, v150                                   // 00000000E280: 7F2C4196
	v_exp_f32_e32 v151, v151                                   // 00000000E284: 7F2E4197
	v_exp_f32_e32 v152, v152                                   // 00000000E288: 7F304198
	v_exp_f32_e32 v153, v153                                   // 00000000E28C: 7F324199
	v_exp_f32_e32 v154, v154                                   // 00000000E290: 7F34419A
	v_exp_f32_e32 v155, v155                                   // 00000000E294: 7F36419B
	v_exp_f32_e32 v156, v156                                   // 00000000E298: 7F38419C
	v_exp_f32_e32 v157, v157                                   // 00000000E29C: 7F3A419D
	v_exp_f32_e32 v158, v158                                   // 00000000E2A0: 7F3C419E
	v_exp_f32_e32 v159, v159                                   // 00000000E2A4: 7F3E419F
	v_mul_f32_e32 v44, v52, v44                                // 00000000E2A8: 0A585934
	v_mov_b32_e32 v45, v144                                    // 00000000E2AC: 7E5A0390
	v_add_f32_e32 v45, v145, v45                               // 00000000E2B0: 025A5B91
	v_add_f32_e32 v45, v146, v45                               // 00000000E2B4: 025A5B92
	v_add_f32_e32 v45, v147, v45                               // 00000000E2B8: 025A5B93
	v_add_f32_e32 v45, v148, v45                               // 00000000E2BC: 025A5B94
	v_add_f32_e32 v45, v149, v45                               // 00000000E2C0: 025A5B95
	v_add_f32_e32 v45, v150, v45                               // 00000000E2C4: 025A5B96
	v_add_f32_e32 v45, v151, v45                               // 00000000E2C8: 025A5B97
	v_add_f32_e32 v45, v152, v45                               // 00000000E2CC: 025A5B98
	v_add_f32_e32 v45, v153, v45                               // 00000000E2D0: 025A5B99
	v_add_f32_e32 v45, v154, v45                               // 00000000E2D4: 025A5B9A
	v_add_f32_e32 v45, v155, v45                               // 00000000E2D8: 025A5B9B
	v_add_f32_e32 v45, v156, v45                               // 00000000E2DC: 025A5B9C
	v_add_f32_e32 v45, v157, v45                               // 00000000E2E0: 025A5B9D
	v_add_f32_e32 v45, v158, v45                               // 00000000E2E4: 025A5B9E
	v_add_f32_e32 v45, v159, v45                               // 00000000E2E8: 025A5B9F
	v_add_f32_e32 v44, v45, v44                                // 00000000E2EC: 0258592D
	v_cmp_u_f32_e64 s[40:41], v144, v144                       // 00000000E2F0: D0480028 00032190
	v_add3_u32 v19, v144, v22, 1                               // 00000000E2F8: D1FF0013 02062D90
	v_cndmask_b32_e64 v39, v19, v21, s[40:41]                  // 00000000E300: D1000027 00A22B13
	v_cmp_u_f32_e64 s[40:41], v145, v145                       // 00000000E308: D0480028 00032391
	v_add3_u32 v19, v145, v22, 1                               // 00000000E310: D1FF0013 02062D91
	v_cndmask_b32_e64 v40, v19, v21, s[40:41]                  // 00000000E318: D1000028 00A22B13
	v_perm_b32 v144, v40, v39, s52                             // 00000000E320: D1ED0090 00D24F28
	v_cmp_u_f32_e64 s[40:41], v146, v146                       // 00000000E328: D0480028 00032592
	v_add3_u32 v19, v146, v22, 1                               // 00000000E330: D1FF0013 02062D92
	v_cndmask_b32_e64 v39, v19, v21, s[40:41]                  // 00000000E338: D1000027 00A22B13
	v_cmp_u_f32_e64 s[40:41], v147, v147                       // 00000000E340: D0480028 00032793
	v_add3_u32 v19, v147, v22, 1                               // 00000000E348: D1FF0013 02062D93
	v_cndmask_b32_e64 v40, v19, v21, s[40:41]                  // 00000000E350: D1000028 00A22B13
	v_perm_b32 v145, v40, v39, s52                             // 00000000E358: D1ED0091 00D24F28
	v_cmp_u_f32_e64 s[40:41], v148, v148                       // 00000000E360: D0480028 00032994
	v_add3_u32 v19, v148, v22, 1                               // 00000000E368: D1FF0013 02062D94
	v_cndmask_b32_e64 v39, v19, v21, s[40:41]                  // 00000000E370: D1000027 00A22B13
	v_cmp_u_f32_e64 s[40:41], v149, v149                       // 00000000E378: D0480028 00032B95
	v_add3_u32 v19, v149, v22, 1                               // 00000000E380: D1FF0013 02062D95
	v_cndmask_b32_e64 v40, v19, v21, s[40:41]                  // 00000000E388: D1000028 00A22B13
	v_perm_b32 v146, v40, v39, s52                             // 00000000E390: D1ED0092 00D24F28
	v_cmp_u_f32_e64 s[40:41], v150, v150                       // 00000000E398: D0480028 00032D96
	v_add3_u32 v19, v150, v22, 1                               // 00000000E3A0: D1FF0013 02062D96
	v_cndmask_b32_e64 v39, v19, v21, s[40:41]                  // 00000000E3A8: D1000027 00A22B13
	v_cmp_u_f32_e64 s[40:41], v151, v151                       // 00000000E3B0: D0480028 00032F97
	v_add3_u32 v19, v151, v22, 1                               // 00000000E3B8: D1FF0013 02062D97
	v_cndmask_b32_e64 v40, v19, v21, s[40:41]                  // 00000000E3C0: D1000028 00A22B13
	v_perm_b32 v147, v40, v39, s52                             // 00000000E3C8: D1ED0093 00D24F28
	v_cmp_u_f32_e64 s[40:41], v152, v152                       // 00000000E3D0: D0480028 00033198
	v_add3_u32 v19, v152, v22, 1                               // 00000000E3D8: D1FF0013 02062D98
	v_cndmask_b32_e64 v39, v19, v21, s[40:41]                  // 00000000E3E0: D1000027 00A22B13
	v_cmp_u_f32_e64 s[40:41], v153, v153                       // 00000000E3E8: D0480028 00033399
	v_add3_u32 v19, v153, v22, 1                               // 00000000E3F0: D1FF0013 02062D99
	v_cndmask_b32_e64 v40, v19, v21, s[40:41]                  // 00000000E3F8: D1000028 00A22B13
	v_perm_b32 v148, v40, v39, s52                             // 00000000E400: D1ED0094 00D24F28
	v_cmp_u_f32_e64 s[40:41], v154, v154                       // 00000000E408: D0480028 0003359A
	v_add3_u32 v19, v154, v22, 1                               // 00000000E410: D1FF0013 02062D9A
	v_cndmask_b32_e64 v39, v19, v21, s[40:41]                  // 00000000E418: D1000027 00A22B13
	v_cmp_u_f32_e64 s[40:41], v155, v155                       // 00000000E420: D0480028 0003379B
	v_add3_u32 v19, v155, v22, 1                               // 00000000E428: D1FF0013 02062D9B
	v_cndmask_b32_e64 v40, v19, v21, s[40:41]                  // 00000000E430: D1000028 00A22B13
	v_perm_b32 v149, v40, v39, s52                             // 00000000E438: D1ED0095 00D24F28
	v_cmp_u_f32_e64 s[40:41], v156, v156                       // 00000000E440: D0480028 0003399C
	v_add3_u32 v19, v156, v22, 1                               // 00000000E448: D1FF0013 02062D9C
	v_cndmask_b32_e64 v39, v19, v21, s[40:41]                  // 00000000E450: D1000027 00A22B13
	v_cmp_u_f32_e64 s[40:41], v157, v157                       // 00000000E458: D0480028 00033B9D
	v_add3_u32 v19, v157, v22, 1                               // 00000000E460: D1FF0013 02062D9D
	v_cndmask_b32_e64 v40, v19, v21, s[40:41]                  // 00000000E468: D1000028 00A22B13
	v_perm_b32 v150, v40, v39, s52                             // 00000000E470: D1ED0096 00D24F28
	v_cmp_u_f32_e64 s[40:41], v158, v158                       // 00000000E478: D0480028 00033D9E
	v_add3_u32 v19, v158, v22, 1                               // 00000000E480: D1FF0013 02062D9E
	v_cndmask_b32_e64 v39, v19, v21, s[40:41]                  // 00000000E488: D1000027 00A22B13
	v_cmp_u_f32_e64 s[40:41], v159, v159                       // 00000000E490: D0480028 00033F9F
	v_add3_u32 v19, v159, v22, 1                               // 00000000E498: D1FF0013 02062D9F
	v_cndmask_b32_e64 v40, v19, v21, s[40:41]                  // 00000000E4A0: D1000028 00A22B13
	v_perm_b32 v151, v40, v39, s52                             // 00000000E4A8: D1ED0097 00D24F28
	ds_write_b64 v13, v[144:145] offset:4096                   // 00000000E4B0: D89A1000 0000900D
	ds_write_b64 v13, v[146:147] offset:6144                   // 00000000E4B8: D89A1800 0000920D
	ds_write_b64 v13, v[148:149] offset:8192                   // 00000000E4C0: D89A2000 0000940D
	ds_write_b64 v13, v[150:151] offset:10240                  // 00000000E4C8: D89A2800 0000960D
	s_waitcnt lgkmcnt(0)                                       // 00000000E4D0: BF8CC07F
	s_barrier                                                  // 00000000E4D4: BF8A0000
	ds_read_b64 v[144:145], v12 offset:4096                    // 00000000E4D8: D8EC1000 9000000C
	ds_read_b64 v[146:147], v12 offset:4224                    // 00000000E4E0: D8EC1080 9200000C
	ds_read_b64 v[148:149], v12 offset:5120                    // 00000000E4E8: D8EC1400 9400000C
	ds_read_b64 v[150:151], v12 offset:5248                    // 00000000E4F0: D8EC1480 9600000C
	ds_read_b64 v[152:153], v12 offset:6144                    // 00000000E4F8: D8EC1800 9800000C
	ds_read_b64 v[154:155], v12 offset:6272                    // 00000000E500: D8EC1880 9A00000C
	ds_read_b64 v[156:157], v12 offset:7168                    // 00000000E508: D8EC1C00 9C00000C
	ds_read_b64 v[158:159], v12 offset:7296                    // 00000000E510: D8EC1C80 9E00000C
	ds_read_b64 v[160:161], v12 offset:8192                    // 00000000E518: D8EC2000 A000000C
	ds_read_b64 v[162:163], v12 offset:8320                    // 00000000E520: D8EC2080 A200000C
	ds_read_b64 v[164:165], v12 offset:9216                    // 00000000E528: D8EC2400 A400000C
	ds_read_b64 v[166:167], v12 offset:9344                    // 00000000E530: D8EC2480 A600000C
	ds_read_b64 v[168:169], v12 offset:10240                   // 00000000E538: D8EC2800 A800000C
	ds_read_b64 v[170:171], v12 offset:10368                   // 00000000E540: D8EC2880 AA00000C
	ds_read_b64 v[172:173], v12 offset:11264                   // 00000000E548: D8EC2C00 AC00000C
	ds_read_b64 v[174:175], v12 offset:11392                   // 00000000E550: D8EC2C80 AE00000C
	s_waitcnt lgkmcnt(0)                                       // 00000000E558: BF8CC07F
	v_mul_f32_e32 v176, v51, v176                              // 00000000E55C: 0B616133
	v_mul_f32_e32 v177, v51, v177                              // 00000000E560: 0B636333
	v_mul_f32_e32 v178, v51, v178                              // 00000000E564: 0B656533
	v_mul_f32_e32 v179, v51, v179                              // 00000000E568: 0B676733
	v_mul_f32_e32 v180, v51, v180                              // 00000000E56C: 0B696933
	v_mul_f32_e32 v181, v51, v181                              // 00000000E570: 0B6B6B33
	v_mul_f32_e32 v182, v51, v182                              // 00000000E574: 0B6D6D33
	v_mul_f32_e32 v183, v51, v183                              // 00000000E578: 0B6F6F33
	v_mul_f32_e32 v184, v52, v184                              // 00000000E57C: 0B717134
	v_mul_f32_e32 v185, v52, v185                              // 00000000E580: 0B737334
	v_mul_f32_e32 v186, v52, v186                              // 00000000E584: 0B757534
	v_mul_f32_e32 v187, v52, v187                              // 00000000E588: 0B777734
	v_mul_f32_e32 v188, v52, v188                              // 00000000E58C: 0B797934
	v_mul_f32_e32 v189, v52, v189                              // 00000000E590: 0B7B7B34
	v_mul_f32_e32 v190, v52, v190                              // 00000000E594: 0B7D7D34
	v_mul_f32_e32 v191, v52, v191                              // 00000000E598: 0B7F7F34
	s_waitcnt vmcnt(24)                                        // 00000000E59C: BF8C4F78
	v_mfma_f32_16x16x16_bf16 v[176:179], a[128:129], v[112:113], v[176:179]// 00000000E5A0: D3E100B0 0EC2E180
	buffer_load_dwordx4 a[224:227], v200, s[20:23], 0 offen offset:1024// 00000000E5A8: E05C1400 8085E0C8
	v_mfma_f32_16x16x16_bf16 v[176:179], a[130:131], v[114:115], v[176:179]// 00000000E5B0: D3E100B0 0EC2E582
	v_mfma_f32_16x16x16_bf16 v[176:179], a[132:133], v[116:117], v[176:179]// 00000000E5B8: D3E100B0 0EC2E984
	v_mfma_f32_16x16x16_bf16 v[176:179], a[134:135], v[118:119], v[176:179]// 00000000E5C0: D3E100B0 0EC2ED86
	v_mfma_f32_16x16x16_bf16 v[176:179], a[136:137], v[120:121], v[176:179]// 00000000E5C8: D3E100B0 0EC2F188
	buffer_load_dwordx4 a[228:231], v201, s[20:23], 0 offen offset:1024// 00000000E5D0: E05C1400 8085E4C9
	v_mfma_f32_16x16x16_bf16 v[176:179], a[138:139], v[122:123], v[176:179]// 00000000E5D8: D3E100B0 0EC2F58A
	v_mfma_f32_16x16x16_bf16 v[176:179], a[140:141], v[124:125], v[176:179]// 00000000E5E0: D3E100B0 0EC2F98C
	v_mfma_f32_16x16x16_bf16 v[176:179], a[142:143], v[126:127], v[176:179]// 00000000E5E8: D3E100B0 0EC2FD8E
	v_mfma_f32_16x16x16_bf16 v[176:179], a[144:145], v[128:129], v[176:179]// 00000000E5F0: D3E100B0 0EC30190
	buffer_load_dwordx4 a[232:235], v202, s[20:23], 0 offen offset:1024// 00000000E5F8: E05C1400 8085E8CA
	v_mfma_f32_16x16x16_bf16 v[176:179], a[146:147], v[130:131], v[176:179]// 00000000E600: D3E100B0 0EC30592
	v_mfma_f32_16x16x16_bf16 v[176:179], a[148:149], v[132:133], v[176:179]// 00000000E608: D3E100B0 0EC30994
	v_mfma_f32_16x16x16_bf16 v[176:179], a[150:151], v[134:135], v[176:179]// 00000000E610: D3E100B0 0EC30D96
	v_mfma_f32_16x16x16_bf16 v[176:179], a[152:153], v[136:137], v[176:179]// 00000000E618: D3E100B0 0EC31198
	buffer_load_dwordx4 a[236:239], v203, s[20:23], 0 offen offset:1024// 00000000E620: E05C1400 8085ECCB
	v_mfma_f32_16x16x16_bf16 v[176:179], a[154:155], v[138:139], v[176:179]// 00000000E628: D3E100B0 0EC3159A
	v_mfma_f32_16x16x16_bf16 v[176:179], a[156:157], v[140:141], v[176:179]// 00000000E630: D3E100B0 0EC3199C
	v_mfma_f32_16x16x16_bf16 v[176:179], a[158:159], v[142:143], v[176:179]// 00000000E638: D3E100B0 0EC31D9E
	v_mfma_f32_16x16x16_bf16 v[180:183], a[160:161], v[112:113], v[180:183]// 00000000E640: D3E100B4 0ED2E1A0
	buffer_load_dwordx4 a[240:243], v204, s[20:23], 0 offen offset:1024// 00000000E648: E05C1400 8085F0CC
	v_mfma_f32_16x16x16_bf16 v[180:183], a[162:163], v[114:115], v[180:183]// 00000000E650: D3E100B4 0ED2E5A2
	v_mfma_f32_16x16x16_bf16 v[180:183], a[164:165], v[116:117], v[180:183]// 00000000E658: D3E100B4 0ED2E9A4
	v_mfma_f32_16x16x16_bf16 v[180:183], a[166:167], v[118:119], v[180:183]// 00000000E660: D3E100B4 0ED2EDA6
	v_mfma_f32_16x16x16_bf16 v[180:183], a[168:169], v[120:121], v[180:183]// 00000000E668: D3E100B4 0ED2F1A8
	buffer_load_dwordx4 a[244:247], v205, s[20:23], 0 offen offset:1024// 00000000E670: E05C1400 8085F4CD
	v_mfma_f32_16x16x16_bf16 v[180:183], a[170:171], v[122:123], v[180:183]// 00000000E678: D3E100B4 0ED2F5AA
	v_mfma_f32_16x16x16_bf16 v[180:183], a[172:173], v[124:125], v[180:183]// 00000000E680: D3E100B4 0ED2F9AC
	v_mfma_f32_16x16x16_bf16 v[180:183], a[174:175], v[126:127], v[180:183]// 00000000E688: D3E100B4 0ED2FDAE
	v_mfma_f32_16x16x16_bf16 v[180:183], a[176:177], v[128:129], v[180:183]// 00000000E690: D3E100B4 0ED301B0
	buffer_load_dwordx4 a[248:251], v206, s[20:23], 0 offen offset:1024// 00000000E698: E05C1400 8085F8CE
	v_mfma_f32_16x16x16_bf16 v[180:183], a[178:179], v[130:131], v[180:183]// 00000000E6A0: D3E100B4 0ED305B2
	v_mfma_f32_16x16x16_bf16 v[180:183], a[180:181], v[132:133], v[180:183]// 00000000E6A8: D3E100B4 0ED309B4
	v_mfma_f32_16x16x16_bf16 v[180:183], a[182:183], v[134:135], v[180:183]// 00000000E6B0: D3E100B4 0ED30DB6
	v_mfma_f32_16x16x16_bf16 v[180:183], a[184:185], v[136:137], v[180:183]// 00000000E6B8: D3E100B4 0ED311B8
	buffer_load_dwordx4 a[252:255], v207, s[20:23], 0 offen offset:1024// 00000000E6C0: E05C1400 8085FCCF
	v_mfma_f32_16x16x16_bf16 v[180:183], a[186:187], v[138:139], v[180:183]// 00000000E6C8: D3E100B4 0ED315BA
	v_mfma_f32_16x16x16_bf16 v[180:183], a[188:189], v[140:141], v[180:183]// 00000000E6D0: D3E100B4 0ED319BC
	v_mfma_f32_16x16x16_bf16 v[180:183], a[190:191], v[142:143], v[180:183]// 00000000E6D8: D3E100B4 0ED31DBE
	v_mfma_f32_16x16x16_bf16 v[184:187], a[128:129], v[144:145], v[184:187]// 00000000E6E0: D3E100B8 0EE32180
	v_mfma_f32_16x16x16_bf16 v[184:187], a[130:131], v[146:147], v[184:187]// 00000000E6E8: D3E100B8 0EE32582
	v_mfma_f32_16x16x16_bf16 v[184:187], a[132:133], v[148:149], v[184:187]// 00000000E6F0: D3E100B8 0EE32984
	v_mfma_f32_16x16x16_bf16 v[184:187], a[134:135], v[150:151], v[184:187]// 00000000E6F8: D3E100B8 0EE32D86
	v_mfma_f32_16x16x16_bf16 v[184:187], a[136:137], v[152:153], v[184:187]// 00000000E700: D3E100B8 0EE33188
	v_mfma_f32_16x16x16_bf16 v[184:187], a[138:139], v[154:155], v[184:187]// 00000000E708: D3E100B8 0EE3358A
	v_mfma_f32_16x16x16_bf16 v[184:187], a[140:141], v[156:157], v[184:187]// 00000000E710: D3E100B8 0EE3398C
	v_mfma_f32_16x16x16_bf16 v[184:187], a[142:143], v[158:159], v[184:187]// 00000000E718: D3E100B8 0EE33D8E
	v_mfma_f32_16x16x16_bf16 v[184:187], a[144:145], v[160:161], v[184:187]// 00000000E720: D3E100B8 0EE34190
	v_mfma_f32_16x16x16_bf16 v[184:187], a[146:147], v[162:163], v[184:187]// 00000000E728: D3E100B8 0EE34592
	v_mfma_f32_16x16x16_bf16 v[184:187], a[148:149], v[164:165], v[184:187]// 00000000E730: D3E100B8 0EE34994
	v_mfma_f32_16x16x16_bf16 v[184:187], a[150:151], v[166:167], v[184:187]// 00000000E738: D3E100B8 0EE34D96
	v_mfma_f32_16x16x16_bf16 v[184:187], a[152:153], v[168:169], v[184:187]// 00000000E740: D3E100B8 0EE35198
	v_mfma_f32_16x16x16_bf16 v[184:187], a[154:155], v[170:171], v[184:187]// 00000000E748: D3E100B8 0EE3559A
	v_mfma_f32_16x16x16_bf16 v[184:187], a[156:157], v[172:173], v[184:187]// 00000000E750: D3E100B8 0EE3599C
	v_mfma_f32_16x16x16_bf16 v[184:187], a[158:159], v[174:175], v[184:187]// 00000000E758: D3E100B8 0EE35D9E
	v_mfma_f32_16x16x16_bf16 v[188:191], a[160:161], v[144:145], v[188:191]// 00000000E760: D3E100BC 0EF321A0
	v_mfma_f32_16x16x16_bf16 v[188:191], a[162:163], v[146:147], v[188:191]// 00000000E768: D3E100BC 0EF325A2
	v_mfma_f32_16x16x16_bf16 v[188:191], a[164:165], v[148:149], v[188:191]// 00000000E770: D3E100BC 0EF329A4
	v_mfma_f32_16x16x16_bf16 v[188:191], a[166:167], v[150:151], v[188:191]// 00000000E778: D3E100BC 0EF32DA6
	v_mfma_f32_16x16x16_bf16 v[188:191], a[168:169], v[152:153], v[188:191]// 00000000E780: D3E100BC 0EF331A8
	v_mfma_f32_16x16x16_bf16 v[188:191], a[170:171], v[154:155], v[188:191]// 00000000E788: D3E100BC 0EF335AA
	v_mfma_f32_16x16x16_bf16 v[188:191], a[172:173], v[156:157], v[188:191]// 00000000E790: D3E100BC 0EF339AC
	v_mfma_f32_16x16x16_bf16 v[188:191], a[174:175], v[158:159], v[188:191]// 00000000E798: D3E100BC 0EF33DAE
	v_mfma_f32_16x16x16_bf16 v[188:191], a[176:177], v[160:161], v[188:191]// 00000000E7A0: D3E100BC 0EF341B0
	v_mfma_f32_16x16x16_bf16 v[188:191], a[178:179], v[162:163], v[188:191]// 00000000E7A8: D3E100BC 0EF345B2
	v_mfma_f32_16x16x16_bf16 v[188:191], a[180:181], v[164:165], v[188:191]// 00000000E7B0: D3E100BC 0EF349B4
	v_mfma_f32_16x16x16_bf16 v[188:191], a[182:183], v[166:167], v[188:191]// 00000000E7B8: D3E100BC 0EF34DB6
	v_mfma_f32_16x16x16_bf16 v[188:191], a[184:185], v[168:169], v[188:191]// 00000000E7C0: D3E100BC 0EF351B8
	v_mfma_f32_16x16x16_bf16 v[188:191], a[186:187], v[170:171], v[188:191]// 00000000E7C8: D3E100BC 0EF355BA
	v_mfma_f32_16x16x16_bf16 v[188:191], a[188:189], v[172:173], v[188:191]// 00000000E7D0: D3E100BC 0EF359BC
	v_mfma_f32_16x16x16_bf16 v[188:191], a[190:191], v[174:175], v[188:191]// 00000000E7D8: D3E100BC 0EF35DBE
	s_lshr_b32 s60, s70, 4                                     // 00000000E7E0: 8F3C8446
	s_add_u32 s60, 48, s60                                     // 00000000E7E4: 803C3CB0
	s_cmp_ge_u32 s60, s73                                      // 00000000E7E8: BF09493C
	s_cselect_b32 s56, 0, s56                                  // 00000000E7EC: 85383880
	v_mul_u32_u24_dpp v39, v17, v54 row_newbcast:0 row_mask:0xf bank_mask:0xf// 00000000E7F0: 104E6CFA FF015011
	v_mul_u32_u24_dpp v40, v17, v54 row_newbcast:4 row_mask:0xf bank_mask:0xf// 00000000E7F8: 10506CFA FF015411
	v_mul_u32_u24_dpp v41, v17, v54 row_newbcast:8 row_mask:0xf bank_mask:0xf// 00000000E800: 10526CFA FF015811
	v_mul_u32_u24_dpp v42, v17, v54 row_newbcast:12 row_mask:0xf bank_mask:0xf// 00000000E808: 10546CFA FF015C11
	v_add_u32_e32 v23, v39, v6                                 // 00000000E810: 682E0D27
	v_add_u32_e32 v24, v40, v6                                 // 00000000E814: 68300D28
	v_add_u32_e32 v25, v41, v6                                 // 00000000E818: 68320D29
	v_add_u32_e32 v26, v42, v6                                 // 00000000E81C: 68340D2A
	v_mul_u32_u24_dpp v39, v17, v54 row_newbcast:1 row_mask:0xf bank_mask:0xf// 00000000E820: 104E6CFA FF015111
	v_mul_u32_u24_dpp v40, v17, v54 row_newbcast:2 row_mask:0xf bank_mask:0xf// 00000000E828: 10506CFA FF015211
	v_mul_u32_u24_dpp v41, v17, v54 row_newbcast:5 row_mask:0xf bank_mask:0xf// 00000000E830: 10526CFA FF015511
	v_mul_u32_u24_dpp v42, v17, v54 row_newbcast:6 row_mask:0xf bank_mask:0xf// 00000000E838: 10546CFA FF015611
	v_add_u32_e32 v192, v39, v7                                // 00000000E840: 69800F27
	v_add_u32_e32 v193, v40, v7                                // 00000000E844: 69820F28
	v_add_u32_e32 v194, v41, v7                                // 00000000E848: 69840F29
	v_add_u32_e32 v195, v42, v7                                // 00000000E84C: 69860F2A
	v_mul_u32_u24_dpp v39, v17, v54 row_newbcast:9 row_mask:0xf bank_mask:0xf// 00000000E850: 104E6CFA FF015911
	v_mul_u32_u24_dpp v40, v17, v54 row_newbcast:10 row_mask:0xf bank_mask:0xf// 00000000E858: 10506CFA FF015A11
	v_mul_u32_u24_dpp v41, v17, v54 row_newbcast:13 row_mask:0xf bank_mask:0xf// 00000000E860: 10526CFA FF015D11
	v_mul_u32_u24_dpp v42, v17, v54 row_newbcast:7 row_mask:0xf bank_mask:0xf// 00000000E868: 10546CFA FF015711
	v_add_u32_e32 v196, v39, v7                                // 00000000E870: 69880F27
	v_add_u32_e32 v197, v40, v7                                // 00000000E874: 698A0F28
	v_add_u32_e32 v198, v41, v7                                // 00000000E878: 698C0F29
	v_add_u32_e32 v199, v42, v7                                // 00000000E87C: 698E0F2A
	v_add_u32_e32 v1, s56, v1                                  // 00000000E880: 68020238
	s_addk_i32 s70, 0x100                                      // 00000000E884: B7460100
	s_cmp_lt_i32 s70, s71                                      // 00000000E888: BF044746
	s_cbranch_scc0 label_2CD7                                  // 00000000E88C: BF84FB32
	s_waitcnt vmcnt(16) lgkmcnt(0)                             // 00000000E890: BF8C4070
	v_mfma_f32_16x16x16_bf16 v[112:115], a[64:65], v[80:81], 0 // 00000000E894: D3E10070 0A02A140
	buffer_load_dwordx4 a[0:3], v23, s[16:19], 0 offen         // 00000000E89C: E05C1000 80840017
	v_mfma_f32_16x16x16_bf16 v[112:115], a[66:67], v[82:83], v[112:115]// 00000000E8A4: D3E10070 0DC2A542
	v_mfma_f32_16x16x16_bf16 v[112:115], a[68:69], v[84:85], v[112:115]// 00000000E8AC: D3E10070 0DC2A944
	buffer_load_dword v18, v1, s[24:27], 0 offen               // 00000000E8B4: E0501000 80061201
	v_mfma_f32_16x16x16_bf16 v[112:115], a[70:71], v[86:87], v[112:115]// 00000000E8BC: D3E10070 0DC2AD46
	v_mfma_f32_16x16x16_bf16 v[112:115], a[72:73], v[88:89], v[112:115]// 00000000E8C4: D3E10070 0DC2B148
	buffer_load_dwordx4 a[4:7], v23, s[16:19], 0 offen offset:1024// 00000000E8CC: E05C1400 80840417
	v_mfma_f32_16x16x16_bf16 v[112:115], a[74:75], v[90:91], v[112:115]// 00000000E8D4: D3E10070 0DC2B54A
	v_mfma_f32_16x16x16_bf16 v[112:115], a[76:77], v[92:93], v[112:115]// 00000000E8DC: D3E10070 0DC2B94C
	v_mfma_f32_16x16x16_bf16 v[112:115], a[78:79], v[94:95], v[112:115]// 00000000E8E4: D3E10070 0DC2BD4E
	v_mfma_f32_16x16x16_bf16 v[116:119], a[80:81], v[80:81], 0 // 00000000E8EC: D3E10074 0A02A150
	buffer_load_dwordx4 a[8:11], v23, s[16:19], 0 offen offset:2048// 00000000E8F4: E05C1800 80840817
	v_mfma_f32_16x16x16_bf16 v[116:119], a[82:83], v[82:83], v[116:119]// 00000000E8FC: D3E10074 0DD2A552
	v_mfma_f32_16x16x16_bf16 v[116:119], a[84:85], v[84:85], v[116:119]// 00000000E904: D3E10074 0DD2A954
	v_mfma_f32_16x16x16_bf16 v[116:119], a[86:87], v[86:87], v[116:119]// 00000000E90C: D3E10074 0DD2AD56
	v_mfma_f32_16x16x16_bf16 v[116:119], a[88:89], v[88:89], v[116:119]// 00000000E914: D3E10074 0DD2B158
	buffer_load_dwordx4 a[12:15], v23, s[16:19], 0 offen offset:3072// 00000000E91C: E05C1C00 80840C17
	v_mfma_f32_16x16x16_bf16 v[116:119], a[90:91], v[90:91], v[116:119]// 00000000E924: D3E10074 0DD2B55A
	v_mfma_f32_16x16x16_bf16 v[116:119], a[92:93], v[92:93], v[116:119]// 00000000E92C: D3E10074 0DD2B95C
	v_mfma_f32_16x16x16_bf16 v[116:119], a[94:95], v[94:95], v[116:119]// 00000000E934: D3E10074 0DD2BD5E
	v_mfma_f32_16x16x16_bf16 v[120:123], a[96:97], v[80:81], 0 // 00000000E93C: D3E10078 0A02A160
	buffer_load_dwordx4 a[16:19], v24, s[16:19], 0 offen       // 00000000E944: E05C1000 80841018
	v_mfma_f32_16x16x16_bf16 v[120:123], a[98:99], v[82:83], v[120:123]// 00000000E94C: D3E10078 0DE2A562
	v_mfma_f32_16x16x16_bf16 v[120:123], a[100:101], v[84:85], v[120:123]// 00000000E954: D3E10078 0DE2A964
	v_mfma_f32_16x16x16_bf16 v[120:123], a[102:103], v[86:87], v[120:123]// 00000000E95C: D3E10078 0DE2AD66
	v_mfma_f32_16x16x16_bf16 v[120:123], a[104:105], v[88:89], v[120:123]// 00000000E964: D3E10078 0DE2B168
	buffer_load_dwordx4 a[20:23], v24, s[16:19], 0 offen offset:1024// 00000000E96C: E05C1400 80841418
	v_mfma_f32_16x16x16_bf16 v[120:123], a[106:107], v[90:91], v[120:123]// 00000000E974: D3E10078 0DE2B56A
	v_mfma_f32_16x16x16_bf16 v[120:123], a[108:109], v[92:93], v[120:123]// 00000000E97C: D3E10078 0DE2B96C
	v_mfma_f32_16x16x16_bf16 v[120:123], a[110:111], v[94:95], v[120:123]// 00000000E984: D3E10078 0DE2BD6E
	v_mfma_f32_16x16x16_bf16 v[124:127], a[112:113], v[80:81], 0// 00000000E98C: D3E1007C 0A02A170
	buffer_load_dwordx4 a[24:27], v24, s[16:19], 0 offen offset:2048// 00000000E994: E05C1800 80841818
	v_mfma_f32_16x16x16_bf16 v[124:127], a[114:115], v[82:83], v[124:127]// 00000000E99C: D3E1007C 0DF2A572
	v_mfma_f32_16x16x16_bf16 v[124:127], a[116:117], v[84:85], v[124:127]// 00000000E9A4: D3E1007C 0DF2A974
	v_mfma_f32_16x16x16_bf16 v[124:127], a[118:119], v[86:87], v[124:127]// 00000000E9AC: D3E1007C 0DF2AD76
	v_mfma_f32_16x16x16_bf16 v[124:127], a[120:121], v[88:89], v[124:127]// 00000000E9B4: D3E1007C 0DF2B178
	buffer_load_dwordx4 a[28:31], v24, s[16:19], 0 offen offset:3072// 00000000E9BC: E05C1C00 80841C18
	v_mfma_f32_16x16x16_bf16 v[124:127], a[122:123], v[90:91], v[124:127]// 00000000E9C4: D3E1007C 0DF2B57A
	v_mfma_f32_16x16x16_bf16 v[124:127], a[124:125], v[92:93], v[124:127]// 00000000E9CC: D3E1007C 0DF2B97C
	v_mfma_f32_16x16x16_bf16 v[124:127], a[126:127], v[94:95], v[124:127]// 00000000E9D4: D3E1007C 0DF2BD7E
	s_cmp_le_i32 s90, s89                                      // 00000000E9DC: BF05595A
	s_cbranch_scc1 label_326D                                  // 00000000E9E0: BF850073
	v_mov_b32_e32 v55, 0xff800000                              // 00000000E9E4: 7E6E02FF FF800000
	s_mov_b32 s60, s90                                         // 00000000E9EC: BEBC005A
	s_add_u32 s61, s89, 0xff                                   // 00000000E9F0: 803DFF59 000000FF
	v_mov_b32_e32 v39, s61                                     // 00000000E9F8: 7E4E023D
	v_lshrrev_b32_e32 v31, 4, v0                               // 00000000E9FC: 203E0084
	v_mul_i32_i24_e32 v31, 4, v31                              // 00000000EA00: 0C3E3E84
	v_add_u32_e32 v31, s60, v31                                // 00000000EA04: 683E3E3C
	v_and_b32_e32 v40, 15, v0                                  // 00000000EA08: 2650008F
	v_lshrrev_b32_e32 v40, 3, v40                              // 00000000EA0C: 20505083
	s_mov_b32 s61, 0                                           // 00000000EA10: BEBD0080
	s_mul_i32 s60, 16, s7                                      // 00000000EA14: 923C0790
	v_add_u32_e32 v40, s61, v40                                // 00000000EA18: 6850503D
	v_sub_u32_e32 v31, v31, v40                                // 00000000EA1C: 6A3E511F
	v_add_u32_e32 v31, s60, v31                                // 00000000EA20: 683E3E3C
	v_add_u32_e32 v32, 1, v31                                  // 00000000EA24: 68403E81
	v_add_u32_e32 v33, 2, v31                                  // 00000000EA28: 68423E82
	v_add_u32_e32 v34, 3, v31                                  // 00000000EA2C: 68443E83
	v_cmp_le_u32_e64 s[40:41], v31, v39                        // 00000000EA30: D0CB0028 00024F1F
	v_add_u32_e32 v31, 64, v31                                 // 00000000EA38: 683E3EC0
	s_nop 0                                                    // 00000000EA3C: BF800000
	v_cndmask_b32_e64 v112, v55, v112, s[40:41]                // 00000000EA40: D1000070 00A2E137
	v_cmp_le_u32_e64 s[40:41], v32, v39                        // 00000000EA48: D0CB0028 00024F20
	v_add_u32_e32 v32, 64, v32                                 // 00000000EA50: 684040C0
	s_nop 0                                                    // 00000000EA54: BF800000
	v_cndmask_b32_e64 v113, v55, v113, s[40:41]                // 00000000EA58: D1000071 00A2E337
	v_cmp_le_u32_e64 s[40:41], v33, v39                        // 00000000EA60: D0CB0028 00024F21
	v_add_u32_e32 v33, 64, v33                                 // 00000000EA68: 684242C0
	s_nop 0                                                    // 00000000EA6C: BF800000
	v_cndmask_b32_e64 v114, v55, v114, s[40:41]                // 00000000EA70: D1000072 00A2E537
	v_cmp_le_u32_e64 s[40:41], v34, v39                        // 00000000EA78: D0CB0028 00024F22
	v_add_u32_e32 v34, 64, v34                                 // 00000000EA80: 684444C0
	s_nop 0                                                    // 00000000EA84: BF800000
	v_cndmask_b32_e64 v115, v55, v115, s[40:41]                // 00000000EA88: D1000073 00A2E737
	v_cmp_le_u32_e64 s[40:41], v31, v39                        // 00000000EA90: D0CB0028 00024F1F
	v_add_u32_e32 v31, 64, v31                                 // 00000000EA98: 683E3EC0
	s_nop 0                                                    // 00000000EA9C: BF800000
	v_cndmask_b32_e64 v116, v55, v116, s[40:41]                // 00000000EAA0: D1000074 00A2E937
	v_cmp_le_u32_e64 s[40:41], v32, v39                        // 00000000EAA8: D0CB0028 00024F20
	v_add_u32_e32 v32, 64, v32                                 // 00000000EAB0: 684040C0
	s_nop 0                                                    // 00000000EAB4: BF800000
	v_cndmask_b32_e64 v117, v55, v117, s[40:41]                // 00000000EAB8: D1000075 00A2EB37
	v_cmp_le_u32_e64 s[40:41], v33, v39                        // 00000000EAC0: D0CB0028 00024F21
	v_add_u32_e32 v33, 64, v33                                 // 00000000EAC8: 684242C0
	s_nop 0                                                    // 00000000EACC: BF800000
	v_cndmask_b32_e64 v118, v55, v118, s[40:41]                // 00000000EAD0: D1000076 00A2ED37
	v_cmp_le_u32_e64 s[40:41], v34, v39                        // 00000000EAD8: D0CB0028 00024F22
	v_add_u32_e32 v34, 64, v34                                 // 00000000EAE0: 684444C0
	s_nop 0                                                    // 00000000EAE4: BF800000
	v_cndmask_b32_e64 v119, v55, v119, s[40:41]                // 00000000EAE8: D1000077 00A2EF37
	v_cmp_le_u32_e64 s[40:41], v31, v39                        // 00000000EAF0: D0CB0028 00024F1F
	v_add_u32_e32 v31, 64, v31                                 // 00000000EAF8: 683E3EC0
	s_nop 0                                                    // 00000000EAFC: BF800000
	v_cndmask_b32_e64 v120, v55, v120, s[40:41]                // 00000000EB00: D1000078 00A2F137
	v_cmp_le_u32_e64 s[40:41], v32, v39                        // 00000000EB08: D0CB0028 00024F20
	v_add_u32_e32 v32, 64, v32                                 // 00000000EB10: 684040C0
	s_nop 0                                                    // 00000000EB14: BF800000
	v_cndmask_b32_e64 v121, v55, v121, s[40:41]                // 00000000EB18: D1000079 00A2F337
	v_cmp_le_u32_e64 s[40:41], v33, v39                        // 00000000EB20: D0CB0028 00024F21
	v_add_u32_e32 v33, 64, v33                                 // 00000000EB28: 684242C0
	s_nop 0                                                    // 00000000EB2C: BF800000
	v_cndmask_b32_e64 v122, v55, v122, s[40:41]                // 00000000EB30: D100007A 00A2F537
	v_cmp_le_u32_e64 s[40:41], v34, v39                        // 00000000EB38: D0CB0028 00024F22
	v_add_u32_e32 v34, 64, v34                                 // 00000000EB40: 684444C0
	s_nop 0                                                    // 00000000EB44: BF800000
	v_cndmask_b32_e64 v123, v55, v123, s[40:41]                // 00000000EB48: D100007B 00A2F737
	v_cmp_le_u32_e64 s[40:41], v31, v39                        // 00000000EB50: D0CB0028 00024F1F
	v_add_u32_e32 v31, 64, v31                                 // 00000000EB58: 683E3EC0
	s_nop 0                                                    // 00000000EB5C: BF800000
	v_cndmask_b32_e64 v124, v55, v124, s[40:41]                // 00000000EB60: D100007C 00A2F937
	v_cmp_le_u32_e64 s[40:41], v32, v39                        // 00000000EB68: D0CB0028 00024F20
	v_add_u32_e32 v32, 64, v32                                 // 00000000EB70: 684040C0
	s_nop 0                                                    // 00000000EB74: BF800000
	v_cndmask_b32_e64 v125, v55, v125, s[40:41]                // 00000000EB78: D100007D 00A2FB37
	v_cmp_le_u32_e64 s[40:41], v33, v39                        // 00000000EB80: D0CB0028 00024F21
	v_add_u32_e32 v33, 64, v33                                 // 00000000EB88: 684242C0
	s_nop 0                                                    // 00000000EB8C: BF800000
	v_cndmask_b32_e64 v126, v55, v126, s[40:41]                // 00000000EB90: D100007E 00A2FD37
	v_cmp_le_u32_e64 s[40:41], v34, v39                        // 00000000EB98: D0CB0028 00024F22
	v_add_u32_e32 v34, 64, v34                                 // 00000000EBA0: 684444C0
	s_nop 0                                                    // 00000000EBA4: BF800000
	v_cndmask_b32_e64 v127, v55, v127, s[40:41]                // 00000000EBA8: D100007F 00A2FF37

000000000000ebb0 <label_326D>:
	s_waitcnt vmcnt(16) lgkmcnt(0)                             // 00000000EBB0: BF8C4070
	v_mfma_f32_16x16x16_bf16 v[144:147], a[64:65], v[96:97], 0 // 00000000EBB4: D3E10090 0A02C140
	v_mfma_f32_16x16x16_bf16 v[144:147], a[66:67], v[98:99], v[144:147]// 00000000EBBC: D3E10090 0E42C542
	v_mfma_f32_16x16x16_bf16 v[144:147], a[68:69], v[100:101], v[144:147]// 00000000EBC4: D3E10090 0E42C944
	v_mfma_f32_16x16x16_bf16 v[144:147], a[70:71], v[102:103], v[144:147]// 00000000EBCC: D3E10090 0E42CD46
	v_mfma_f32_16x16x16_bf16 v[144:147], a[72:73], v[104:105], v[144:147]// 00000000EBD4: D3E10090 0E42D148
	v_mfma_f32_16x16x16_bf16 v[144:147], a[74:75], v[106:107], v[144:147]// 00000000EBDC: D3E10090 0E42D54A
	v_mfma_f32_16x16x16_bf16 v[144:147], a[76:77], v[108:109], v[144:147]// 00000000EBE4: D3E10090 0E42D94C
	v_mfma_f32_16x16x16_bf16 v[144:147], a[78:79], v[110:111], v[144:147]// 00000000EBEC: D3E10090 0E42DD4E
	v_mfma_f32_16x16x16_bf16 v[148:151], a[80:81], v[96:97], 0 // 00000000EBF4: D3E10094 0A02C150
	v_mfma_f32_16x16x16_bf16 v[148:151], a[82:83], v[98:99], v[148:151]// 00000000EBFC: D3E10094 0E52C552
	v_mfma_f32_16x16x16_bf16 v[148:151], a[84:85], v[100:101], v[148:151]// 00000000EC04: D3E10094 0E52C954
	v_mfma_f32_16x16x16_bf16 v[148:151], a[86:87], v[102:103], v[148:151]// 00000000EC0C: D3E10094 0E52CD56
	v_mfma_f32_16x16x16_bf16 v[148:151], a[88:89], v[104:105], v[148:151]// 00000000EC14: D3E10094 0E52D158
	v_mfma_f32_16x16x16_bf16 v[148:151], a[90:91], v[106:107], v[148:151]// 00000000EC1C: D3E10094 0E52D55A
	v_mfma_f32_16x16x16_bf16 v[148:151], a[92:93], v[108:109], v[148:151]// 00000000EC24: D3E10094 0E52D95C
	v_mfma_f32_16x16x16_bf16 v[148:151], a[94:95], v[110:111], v[148:151]// 00000000EC2C: D3E10094 0E52DD5E
	v_mfma_f32_16x16x16_bf16 v[152:155], a[96:97], v[96:97], 0 // 00000000EC34: D3E10098 0A02C160
	v_mfma_f32_16x16x16_bf16 v[152:155], a[98:99], v[98:99], v[152:155]// 00000000EC3C: D3E10098 0E62C562
	v_mfma_f32_16x16x16_bf16 v[152:155], a[100:101], v[100:101], v[152:155]// 00000000EC44: D3E10098 0E62C964
	v_mfma_f32_16x16x16_bf16 v[152:155], a[102:103], v[102:103], v[152:155]// 00000000EC4C: D3E10098 0E62CD66
	v_mfma_f32_16x16x16_bf16 v[152:155], a[104:105], v[104:105], v[152:155]// 00000000EC54: D3E10098 0E62D168
	v_mfma_f32_16x16x16_bf16 v[152:155], a[106:107], v[106:107], v[152:155]// 00000000EC5C: D3E10098 0E62D56A
	v_mfma_f32_16x16x16_bf16 v[152:155], a[108:109], v[108:109], v[152:155]// 00000000EC64: D3E10098 0E62D96C
	v_mfma_f32_16x16x16_bf16 v[152:155], a[110:111], v[110:111], v[152:155]// 00000000EC6C: D3E10098 0E62DD6E
	v_mfma_f32_16x16x16_bf16 v[156:159], a[112:113], v[96:97], 0// 00000000EC74: D3E1009C 0A02C170
	v_mfma_f32_16x16x16_bf16 v[156:159], a[114:115], v[98:99], v[156:159]// 00000000EC7C: D3E1009C 0E72C572
	v_mfma_f32_16x16x16_bf16 v[156:159], a[116:117], v[100:101], v[156:159]// 00000000EC84: D3E1009C 0E72C974
	v_mfma_f32_16x16x16_bf16 v[156:159], a[118:119], v[102:103], v[156:159]// 00000000EC8C: D3E1009C 0E72CD76
	v_mfma_f32_16x16x16_bf16 v[156:159], a[120:121], v[104:105], v[156:159]// 00000000EC94: D3E1009C 0E72D178
	v_mfma_f32_16x16x16_bf16 v[156:159], a[122:123], v[106:107], v[156:159]// 00000000EC9C: D3E1009C 0E72D57A
	v_mfma_f32_16x16x16_bf16 v[156:159], a[124:125], v[108:109], v[156:159]// 00000000ECA4: D3E1009C 0E72D97C
	v_mfma_f32_16x16x16_bf16 v[156:159], a[126:127], v[110:111], v[156:159]// 00000000ECAC: D3E1009C 0E72DD7E
	s_cmp_le_i32 s90, s89                                      // 00000000ECB4: BF05595A
	s_cbranch_scc1 label_3323                                  // 00000000ECB8: BF850073
	v_mov_b32_e32 v55, 0xff800000                              // 00000000ECBC: 7E6E02FF FF800000
	s_mov_b32 s60, s90                                         // 00000000ECC4: BEBC005A
	s_add_u32 s61, s89, 0xff                                   // 00000000ECC8: 803DFF59 000000FF
	v_mov_b32_e32 v39, s61                                     // 00000000ECD0: 7E4E023D
	v_lshrrev_b32_e32 v31, 4, v0                               // 00000000ECD4: 203E0084
	v_mul_i32_i24_e32 v31, 4, v31                              // 00000000ECD8: 0C3E3E84
	v_add_u32_e32 v31, s60, v31                                // 00000000ECDC: 683E3E3C
	v_and_b32_e32 v40, 15, v0                                  // 00000000ECE0: 2650008F
	v_lshrrev_b32_e32 v40, 3, v40                              // 00000000ECE4: 20505083
	s_mov_b32 s61, 2                                           // 00000000ECE8: BEBD0082
	s_mul_i32 s60, 16, s7                                      // 00000000ECEC: 923C0790
	v_add_u32_e32 v40, s61, v40                                // 00000000ECF0: 6850503D
	v_sub_u32_e32 v31, v31, v40                                // 00000000ECF4: 6A3E511F
	v_add_u32_e32 v31, s60, v31                                // 00000000ECF8: 683E3E3C
	v_add_u32_e32 v32, 1, v31                                  // 00000000ECFC: 68403E81
	v_add_u32_e32 v33, 2, v31                                  // 00000000ED00: 68423E82
	v_add_u32_e32 v34, 3, v31                                  // 00000000ED04: 68443E83
	v_cmp_le_u32_e64 s[40:41], v31, v39                        // 00000000ED08: D0CB0028 00024F1F
	v_add_u32_e32 v31, 64, v31                                 // 00000000ED10: 683E3EC0
	s_nop 0                                                    // 00000000ED14: BF800000
	v_cndmask_b32_e64 v144, v55, v144, s[40:41]                // 00000000ED18: D1000090 00A32137
	v_cmp_le_u32_e64 s[40:41], v32, v39                        // 00000000ED20: D0CB0028 00024F20
	v_add_u32_e32 v32, 64, v32                                 // 00000000ED28: 684040C0
	s_nop 0                                                    // 00000000ED2C: BF800000
	v_cndmask_b32_e64 v145, v55, v145, s[40:41]                // 00000000ED30: D1000091 00A32337
	v_cmp_le_u32_e64 s[40:41], v33, v39                        // 00000000ED38: D0CB0028 00024F21
	v_add_u32_e32 v33, 64, v33                                 // 00000000ED40: 684242C0
	s_nop 0                                                    // 00000000ED44: BF800000
	v_cndmask_b32_e64 v146, v55, v146, s[40:41]                // 00000000ED48: D1000092 00A32537
	v_cmp_le_u32_e64 s[40:41], v34, v39                        // 00000000ED50: D0CB0028 00024F22
	v_add_u32_e32 v34, 64, v34                                 // 00000000ED58: 684444C0
	s_nop 0                                                    // 00000000ED5C: BF800000
	v_cndmask_b32_e64 v147, v55, v147, s[40:41]                // 00000000ED60: D1000093 00A32737
	v_cmp_le_u32_e64 s[40:41], v31, v39                        // 00000000ED68: D0CB0028 00024F1F
	v_add_u32_e32 v31, 64, v31                                 // 00000000ED70: 683E3EC0
	s_nop 0                                                    // 00000000ED74: BF800000
	v_cndmask_b32_e64 v148, v55, v148, s[40:41]                // 00000000ED78: D1000094 00A32937
	v_cmp_le_u32_e64 s[40:41], v32, v39                        // 00000000ED80: D0CB0028 00024F20
	v_add_u32_e32 v32, 64, v32                                 // 00000000ED88: 684040C0
	s_nop 0                                                    // 00000000ED8C: BF800000
	v_cndmask_b32_e64 v149, v55, v149, s[40:41]                // 00000000ED90: D1000095 00A32B37
	v_cmp_le_u32_e64 s[40:41], v33, v39                        // 00000000ED98: D0CB0028 00024F21
	v_add_u32_e32 v33, 64, v33                                 // 00000000EDA0: 684242C0
	s_nop 0                                                    // 00000000EDA4: BF800000
	v_cndmask_b32_e64 v150, v55, v150, s[40:41]                // 00000000EDA8: D1000096 00A32D37
	v_cmp_le_u32_e64 s[40:41], v34, v39                        // 00000000EDB0: D0CB0028 00024F22
	v_add_u32_e32 v34, 64, v34                                 // 00000000EDB8: 684444C0
	s_nop 0                                                    // 00000000EDBC: BF800000
	v_cndmask_b32_e64 v151, v55, v151, s[40:41]                // 00000000EDC0: D1000097 00A32F37
	v_cmp_le_u32_e64 s[40:41], v31, v39                        // 00000000EDC8: D0CB0028 00024F1F
	v_add_u32_e32 v31, 64, v31                                 // 00000000EDD0: 683E3EC0
	s_nop 0                                                    // 00000000EDD4: BF800000
	v_cndmask_b32_e64 v152, v55, v152, s[40:41]                // 00000000EDD8: D1000098 00A33137
	v_cmp_le_u32_e64 s[40:41], v32, v39                        // 00000000EDE0: D0CB0028 00024F20
	v_add_u32_e32 v32, 64, v32                                 // 00000000EDE8: 684040C0
	s_nop 0                                                    // 00000000EDEC: BF800000
	v_cndmask_b32_e64 v153, v55, v153, s[40:41]                // 00000000EDF0: D1000099 00A33337
	v_cmp_le_u32_e64 s[40:41], v33, v39                        // 00000000EDF8: D0CB0028 00024F21
	v_add_u32_e32 v33, 64, v33                                 // 00000000EE00: 684242C0
	s_nop 0                                                    // 00000000EE04: BF800000
	v_cndmask_b32_e64 v154, v55, v154, s[40:41]                // 00000000EE08: D100009A 00A33537
	v_cmp_le_u32_e64 s[40:41], v34, v39                        // 00000000EE10: D0CB0028 00024F22
	v_add_u32_e32 v34, 64, v34                                 // 00000000EE18: 684444C0
	s_nop 0                                                    // 00000000EE1C: BF800000
	v_cndmask_b32_e64 v155, v55, v155, s[40:41]                // 00000000EE20: D100009B 00A33737
	v_cmp_le_u32_e64 s[40:41], v31, v39                        // 00000000EE28: D0CB0028 00024F1F
	v_add_u32_e32 v31, 64, v31                                 // 00000000EE30: 683E3EC0
	s_nop 0                                                    // 00000000EE34: BF800000
	v_cndmask_b32_e64 v156, v55, v156, s[40:41]                // 00000000EE38: D100009C 00A33937
	v_cmp_le_u32_e64 s[40:41], v32, v39                        // 00000000EE40: D0CB0028 00024F20
	v_add_u32_e32 v32, 64, v32                                 // 00000000EE48: 684040C0
	s_nop 0                                                    // 00000000EE4C: BF800000
	v_cndmask_b32_e64 v157, v55, v157, s[40:41]                // 00000000EE50: D100009D 00A33B37
	v_cmp_le_u32_e64 s[40:41], v33, v39                        // 00000000EE58: D0CB0028 00024F21
	v_add_u32_e32 v33, 64, v33                                 // 00000000EE60: 684242C0
	s_nop 0                                                    // 00000000EE64: BF800000
	v_cndmask_b32_e64 v158, v55, v158, s[40:41]                // 00000000EE68: D100009E 00A33D37
	v_cmp_le_u32_e64 s[40:41], v34, v39                        // 00000000EE70: D0CB0028 00024F22
	v_add_u32_e32 v34, 64, v34                                 // 00000000EE78: 684444C0
	s_nop 0                                                    // 00000000EE7C: BF800000
	v_cndmask_b32_e64 v159, v55, v159, s[40:41]                // 00000000EE80: D100009F 00A33F37

000000000000ee88 <label_3323>:
	s_add_u32 s90, s91, s90                                    // 00000000EE88: 805A5A5B
	s_nop 0                                                    // 00000000EE8C: BF800000
	buffer_load_dwordx4 a[32:35], v25, s[16:19], 0 offen       // 00000000EE90: E05C1000 80842019
	s_nop 8                                                    // 00000000EE98: BF800008
	buffer_load_dwordx4 a[36:39], v25, s[16:19], 0 offen offset:1024// 00000000EE9C: E05C1400 80842419
	v_mov_b32_e32 v50, v112                                    // 00000000EEA4: 7E640370
	v_max3_f32 v50, v112, v113, v50                            // 00000000EEA8: D1D30032 04CAE370
	v_max3_f32 v50, v114, v115, v50                            // 00000000EEB0: D1D30032 04CAE772
	v_max3_f32 v50, v116, v117, v50                            // 00000000EEB8: D1D30032 04CAEB74
	v_max3_f32 v50, v118, v119, v50                            // 00000000EEC0: D1D30032 04CAEF76
	v_max3_f32 v50, v120, v121, v50                            // 00000000EEC8: D1D30032 04CAF378
	v_max3_f32 v50, v122, v123, v50                            // 00000000EED0: D1D30032 04CAF77A
	v_max3_f32 v50, v124, v125, v50                            // 00000000EED8: D1D30032 04CAFB7C
	v_max3_f32 v50, v126, v127, v50                            // 00000000EEE0: D1D30032 04CAFF7E
	ds_write_b32 v11, v50                                      // 00000000EEE8: D81A0000 0000320B
	buffer_load_dwordx4 a[40:43], v25, s[16:19], 0 offen offset:2048// 00000000EEF0: E05C1800 80842819
	s_waitcnt lgkmcnt(0)                                       // 00000000EEF8: BF8CC07F
	s_barrier                                                  // 00000000EEFC: BF8A0000
	ds_read_b32 v64, v10                                       // 00000000EF00: D86C0000 4000000A
	buffer_load_dwordx4 a[44:47], v25, s[16:19], 0 offen offset:3072// 00000000EF08: E05C1C00 80842C19
	ds_read_b32 v65, v10 offset:64                             // 00000000EF10: D86C0040 4100000A
	ds_read_b32 v66, v10 offset:128                            // 00000000EF18: D86C0080 4200000A
	ds_read_b32 v67, v10 offset:192                            // 00000000EF20: D86C00C0 4300000A
	ds_read_b32 v68, v10 offset:256                            // 00000000EF28: D86C0100 4400000A
	ds_read_b32 v69, v10 offset:320                            // 00000000EF30: D86C0140 4500000A
	ds_read_b32 v70, v10 offset:384                            // 00000000EF38: D86C0180 4600000A
	ds_read_b32 v71, v10 offset:448                            // 00000000EF40: D86C01C0 4700000A
	ds_read_b32 v72, v10 offset:512                            // 00000000EF48: D86C0200 4800000A
	buffer_load_dwordx4 a[48:51], v26, s[16:19], 0 offen       // 00000000EF50: E05C1000 8084301A
	ds_read_b32 v73, v10 offset:576                            // 00000000EF58: D86C0240 4900000A
	ds_read_b32 v74, v10 offset:640                            // 00000000EF60: D86C0280 4A00000A
	ds_read_b32 v75, v10 offset:704                            // 00000000EF68: D86C02C0 4B00000A
	ds_read_b32 v76, v10 offset:768                            // 00000000EF70: D86C0300 4C00000A
	ds_read_b32 v77, v10 offset:832                            // 00000000EF78: D86C0340 4D00000A
	ds_read_b32 v78, v10 offset:896                            // 00000000EF80: D86C0380 4E00000A
	ds_read_b32 v79, v10 offset:960                            // 00000000EF88: D86C03C0 4F00000A
	buffer_load_dwordx4 a[52:55], v26, s[16:19], 0 offen offset:1024// 00000000EF90: E05C1400 8084341A
	buffer_load_dwordx4 a[56:59], v26, s[16:19], 0 offen offset:2048// 00000000EF98: E05C1800 8084381A
	s_waitcnt lgkmcnt(0)                                       // 00000000EFA0: BF8CC07F
	v_max3_f32 v50, v64, v65, v50                              // 00000000EFA4: D1D30032 04CA8340
	v_max3_f32 v50, v66, v67, v50                              // 00000000EFAC: D1D30032 04CA8742
	v_max3_f32 v50, v68, v69, v50                              // 00000000EFB4: D1D30032 04CA8B44
	v_max3_f32 v50, v70, v71, v50                              // 00000000EFBC: D1D30032 04CA8F46
	v_max3_f32 v50, v72, v73, v50                              // 00000000EFC4: D1D30032 04CA9348
	v_max3_f32 v50, v74, v75, v50                              // 00000000EFCC: D1D30032 04CA974A
	v_max3_f32 v50, v76, v77, v50                              // 00000000EFD4: D1D30032 04CA9B4C
	v_max3_f32 v50, v78, v79, v50                              // 00000000EFDC: D1D30032 04CA9F4E
	buffer_load_dwordx4 a[60:63], v26, s[16:19], 0 offen offset:3072// 00000000EFE4: E05C1C00 80843C1A
	v_cmp_eq_u32_e64 s[40:41], v55, v14                        // 00000000EFEC: D0CA0028 00021D37
	s_nop 1                                                    // 00000000EFF4: BF800001
	v_max_f32_e32 v16, v50, v14                                // 00000000EFF8: 16201D32
	v_sub_f32_e32 v51, v14, v16                                // 00000000EFFC: 0466210E
	v_cndmask_b32_e64 v51, v51, 0, s[40:41]                    // 00000000F000: D1000033 00A10133
	v_mov_b32_e32 v14, v16                                     // 00000000F008: 7E1C0310
	v_mul_f32_e32 v53, s64, v16                                // 00000000F00C: 0A6A2040
	v_mul_f32_e32 v51, s64, v51                                // 00000000F010: 0A666640
	v_exp_f32_e32 v51, v51                                     // 00000000F014: 7E664133
	buffer_load_dwordx4 a[128:131], v192, s[20:23], 0 offen    // 00000000F018: E05C1000 808580C0
	v_fma_f32 v112, v112, s64, -v53                            // 00000000F020: D1CB0070 84D48170
	v_fma_f32 v113, v113, s64, -v53                            // 00000000F028: D1CB0071 84D48171
	v_fma_f32 v114, v114, s64, -v53                            // 00000000F030: D1CB0072 84D48172
	v_fma_f32 v115, v115, s64, -v53                            // 00000000F038: D1CB0073 84D48173
	v_fma_f32 v116, v116, s64, -v53                            // 00000000F040: D1CB0074 84D48174
	v_fma_f32 v117, v117, s64, -v53                            // 00000000F048: D1CB0075 84D48175
	v_fma_f32 v118, v118, s64, -v53                            // 00000000F050: D1CB0076 84D48176
	v_fma_f32 v119, v119, s64, -v53                            // 00000000F058: D1CB0077 84D48177
	v_fma_f32 v120, v120, s64, -v53                            // 00000000F060: D1CB0078 84D48178
	v_fma_f32 v121, v121, s64, -v53                            // 00000000F068: D1CB0079 84D48179
	v_fma_f32 v122, v122, s64, -v53                            // 00000000F070: D1CB007A 84D4817A
	v_fma_f32 v123, v123, s64, -v53                            // 00000000F078: D1CB007B 84D4817B
	v_fma_f32 v124, v124, s64, -v53                            // 00000000F080: D1CB007C 84D4817C
	v_fma_f32 v125, v125, s64, -v53                            // 00000000F088: D1CB007D 84D4817D
	v_fma_f32 v126, v126, s64, -v53                            // 00000000F090: D1CB007E 84D4817E
	v_fma_f32 v127, v127, s64, -v53                            // 00000000F098: D1CB007F 84D4817F
	v_exp_f32_e32 v112, v112                                   // 00000000F0A0: 7EE04170
	v_exp_f32_e32 v113, v113                                   // 00000000F0A4: 7EE24171
	v_exp_f32_e32 v114, v114                                   // 00000000F0A8: 7EE44172
	v_exp_f32_e32 v115, v115                                   // 00000000F0AC: 7EE64173
	v_exp_f32_e32 v116, v116                                   // 00000000F0B0: 7EE84174
	v_exp_f32_e32 v117, v117                                   // 00000000F0B4: 7EEA4175
	v_exp_f32_e32 v118, v118                                   // 00000000F0B8: 7EEC4176
	v_exp_f32_e32 v119, v119                                   // 00000000F0BC: 7EEE4177
	v_exp_f32_e32 v120, v120                                   // 00000000F0C0: 7EF04178
	v_exp_f32_e32 v121, v121                                   // 00000000F0C4: 7EF24179
	v_exp_f32_e32 v122, v122                                   // 00000000F0C8: 7EF4417A
	v_exp_f32_e32 v123, v123                                   // 00000000F0CC: 7EF6417B
	v_exp_f32_e32 v124, v124                                   // 00000000F0D0: 7EF8417C
	v_exp_f32_e32 v125, v125                                   // 00000000F0D4: 7EFA417D
	v_exp_f32_e32 v126, v126                                   // 00000000F0D8: 7EFC417E
	v_exp_f32_e32 v127, v127                                   // 00000000F0DC: 7EFE417F
	buffer_load_dwordx4 a[132:135], v193, s[20:23], 0 offen    // 00000000F0E0: E05C1000 808584C1
	v_mul_f32_e32 v43, v51, v43                                // 00000000F0E8: 0A565733
	v_mov_b32_e32 v45, v112                                    // 00000000F0EC: 7E5A0370
	v_add_f32_e32 v45, v113, v45                               // 00000000F0F0: 025A5B71
	v_add_f32_e32 v45, v114, v45                               // 00000000F0F4: 025A5B72
	v_add_f32_e32 v45, v115, v45                               // 00000000F0F8: 025A5B73
	v_add_f32_e32 v45, v116, v45                               // 00000000F0FC: 025A5B74
	v_add_f32_e32 v45, v117, v45                               // 00000000F100: 025A5B75
	v_add_f32_e32 v45, v118, v45                               // 00000000F104: 025A5B76
	v_add_f32_e32 v45, v119, v45                               // 00000000F108: 025A5B77
	v_add_f32_e32 v45, v120, v45                               // 00000000F10C: 025A5B78
	v_add_f32_e32 v45, v121, v45                               // 00000000F110: 025A5B79
	v_add_f32_e32 v45, v122, v45                               // 00000000F114: 025A5B7A
	v_add_f32_e32 v45, v123, v45                               // 00000000F118: 025A5B7B
	v_add_f32_e32 v45, v124, v45                               // 00000000F11C: 025A5B7C
	v_add_f32_e32 v45, v125, v45                               // 00000000F120: 025A5B7D
	v_add_f32_e32 v45, v126, v45                               // 00000000F124: 025A5B7E
	v_add_f32_e32 v45, v127, v45                               // 00000000F128: 025A5B7F
	v_add_f32_e32 v43, v45, v43                                // 00000000F12C: 0256572D
	buffer_load_dwordx4 a[136:139], v194, s[20:23], 0 offen    // 00000000F130: E05C1000 808588C2
	v_cmp_u_f32_e64 s[40:41], v112, v112                       // 00000000F138: D0480028 0002E170
	v_add3_u32 v19, v112, v22, 1                               // 00000000F140: D1FF0013 02062D70
	v_cndmask_b32_e64 v39, v19, v21, s[40:41]                  // 00000000F148: D1000027 00A22B13
	v_cmp_u_f32_e64 s[40:41], v113, v113                       // 00000000F150: D0480028 0002E371
	v_add3_u32 v19, v113, v22, 1                               // 00000000F158: D1FF0013 02062D71
	v_cndmask_b32_e64 v40, v19, v21, s[40:41]                  // 00000000F160: D1000028 00A22B13
	v_perm_b32 v112, v40, v39, s52                             // 00000000F168: D1ED0070 00D24F28
	v_cmp_u_f32_e64 s[40:41], v114, v114                       // 00000000F170: D0480028 0002E572
	v_add3_u32 v19, v114, v22, 1                               // 00000000F178: D1FF0013 02062D72
	v_cndmask_b32_e64 v39, v19, v21, s[40:41]                  // 00000000F180: D1000027 00A22B13
	v_cmp_u_f32_e64 s[40:41], v115, v115                       // 00000000F188: D0480028 0002E773
	v_add3_u32 v19, v115, v22, 1                               // 00000000F190: D1FF0013 02062D73
	v_cndmask_b32_e64 v40, v19, v21, s[40:41]                  // 00000000F198: D1000028 00A22B13
	v_perm_b32 v113, v40, v39, s52                             // 00000000F1A0: D1ED0071 00D24F28
	v_cmp_u_f32_e64 s[40:41], v116, v116                       // 00000000F1A8: D0480028 0002E974
	v_add3_u32 v19, v116, v22, 1                               // 00000000F1B0: D1FF0013 02062D74
	v_cndmask_b32_e64 v39, v19, v21, s[40:41]                  // 00000000F1B8: D1000027 00A22B13
	v_cmp_u_f32_e64 s[40:41], v117, v117                       // 00000000F1C0: D0480028 0002EB75
	v_add3_u32 v19, v117, v22, 1                               // 00000000F1C8: D1FF0013 02062D75
	v_cndmask_b32_e64 v40, v19, v21, s[40:41]                  // 00000000F1D0: D1000028 00A22B13
	v_perm_b32 v114, v40, v39, s52                             // 00000000F1D8: D1ED0072 00D24F28
	v_cmp_u_f32_e64 s[40:41], v118, v118                       // 00000000F1E0: D0480028 0002ED76
	v_add3_u32 v19, v118, v22, 1                               // 00000000F1E8: D1FF0013 02062D76
	v_cndmask_b32_e64 v39, v19, v21, s[40:41]                  // 00000000F1F0: D1000027 00A22B13
	v_cmp_u_f32_e64 s[40:41], v119, v119                       // 00000000F1F8: D0480028 0002EF77
	v_add3_u32 v19, v119, v22, 1                               // 00000000F200: D1FF0013 02062D77
	v_cndmask_b32_e64 v40, v19, v21, s[40:41]                  // 00000000F208: D1000028 00A22B13
	v_perm_b32 v115, v40, v39, s52                             // 00000000F210: D1ED0073 00D24F28
	v_cmp_u_f32_e64 s[40:41], v120, v120                       // 00000000F218: D0480028 0002F178
	v_add3_u32 v19, v120, v22, 1                               // 00000000F220: D1FF0013 02062D78
	v_cndmask_b32_e64 v39, v19, v21, s[40:41]                  // 00000000F228: D1000027 00A22B13
	v_cmp_u_f32_e64 s[40:41], v121, v121                       // 00000000F230: D0480028 0002F379
	v_add3_u32 v19, v121, v22, 1                               // 00000000F238: D1FF0013 02062D79
	v_cndmask_b32_e64 v40, v19, v21, s[40:41]                  // 00000000F240: D1000028 00A22B13
	v_perm_b32 v116, v40, v39, s52                             // 00000000F248: D1ED0074 00D24F28
	v_cmp_u_f32_e64 s[40:41], v122, v122                       // 00000000F250: D0480028 0002F57A
	v_add3_u32 v19, v122, v22, 1                               // 00000000F258: D1FF0013 02062D7A
	v_cndmask_b32_e64 v39, v19, v21, s[40:41]                  // 00000000F260: D1000027 00A22B13
	v_cmp_u_f32_e64 s[40:41], v123, v123                       // 00000000F268: D0480028 0002F77B
	v_add3_u32 v19, v123, v22, 1                               // 00000000F270: D1FF0013 02062D7B
	v_cndmask_b32_e64 v40, v19, v21, s[40:41]                  // 00000000F278: D1000028 00A22B13
	v_perm_b32 v117, v40, v39, s52                             // 00000000F280: D1ED0075 00D24F28
	v_cmp_u_f32_e64 s[40:41], v124, v124                       // 00000000F288: D0480028 0002F97C
	v_add3_u32 v19, v124, v22, 1                               // 00000000F290: D1FF0013 02062D7C
	v_cndmask_b32_e64 v39, v19, v21, s[40:41]                  // 00000000F298: D1000027 00A22B13
	v_cmp_u_f32_e64 s[40:41], v125, v125                       // 00000000F2A0: D0480028 0002FB7D
	v_add3_u32 v19, v125, v22, 1                               // 00000000F2A8: D1FF0013 02062D7D
	v_cndmask_b32_e64 v40, v19, v21, s[40:41]                  // 00000000F2B0: D1000028 00A22B13
	v_perm_b32 v118, v40, v39, s52                             // 00000000F2B8: D1ED0076 00D24F28
	v_cmp_u_f32_e64 s[40:41], v126, v126                       // 00000000F2C0: D0480028 0002FD7E
	v_add3_u32 v19, v126, v22, 1                               // 00000000F2C8: D1FF0013 02062D7E
	v_cndmask_b32_e64 v39, v19, v21, s[40:41]                  // 00000000F2D0: D1000027 00A22B13
	v_cmp_u_f32_e64 s[40:41], v127, v127                       // 00000000F2D8: D0480028 0002FF7F
	v_add3_u32 v19, v127, v22, 1                               // 00000000F2E0: D1FF0013 02062D7F
	v_cndmask_b32_e64 v40, v19, v21, s[40:41]                  // 00000000F2E8: D1000028 00A22B13
	v_perm_b32 v119, v40, v39, s52                             // 00000000F2F0: D1ED0077 00D24F28
	buffer_load_dwordx4 a[140:143], v195, s[20:23], 0 offen    // 00000000F2F8: E05C1000 80858CC3
	buffer_load_dwordx4 a[144:147], v196, s[20:23], 0 offen    // 00000000F300: E05C1000 808590C4
	ds_write_b64 v13, v[112:113] offset:4096                   // 00000000F308: D89A1000 0000700D
	ds_write_b64 v13, v[114:115] offset:6144                   // 00000000F310: D89A1800 0000720D
	ds_write_b64 v13, v[116:117] offset:8192                   // 00000000F318: D89A2000 0000740D
	ds_write_b64 v13, v[118:119] offset:10240                  // 00000000F320: D89A2800 0000760D
	buffer_load_dwordx4 a[148:151], v197, s[20:23], 0 offen    // 00000000F328: E05C1000 808594C5
	s_waitcnt lgkmcnt(0)                                       // 00000000F330: BF8CC07F
	s_barrier                                                  // 00000000F334: BF8A0000
	ds_read_b64 v[112:113], v12 offset:4096                    // 00000000F338: D8EC1000 7000000C
	ds_read_b64 v[114:115], v12 offset:4224                    // 00000000F340: D8EC1080 7200000C
	ds_read_b64 v[116:117], v12 offset:5120                    // 00000000F348: D8EC1400 7400000C
	ds_read_b64 v[118:119], v12 offset:5248                    // 00000000F350: D8EC1480 7600000C
	ds_read_b64 v[120:121], v12 offset:6144                    // 00000000F358: D8EC1800 7800000C
	ds_read_b64 v[122:123], v12 offset:6272                    // 00000000F360: D8EC1880 7A00000C
	ds_read_b64 v[124:125], v12 offset:7168                    // 00000000F368: D8EC1C00 7C00000C
	ds_read_b64 v[126:127], v12 offset:7296                    // 00000000F370: D8EC1C80 7E00000C
	ds_read_b64 v[128:129], v12 offset:8192                    // 00000000F378: D8EC2000 8000000C
	ds_read_b64 v[130:131], v12 offset:8320                    // 00000000F380: D8EC2080 8200000C
	ds_read_b64 v[132:133], v12 offset:9216                    // 00000000F388: D8EC2400 8400000C
	ds_read_b64 v[134:135], v12 offset:9344                    // 00000000F390: D8EC2480 8600000C
	ds_read_b64 v[136:137], v12 offset:10240                   // 00000000F398: D8EC2800 8800000C
	ds_read_b64 v[138:139], v12 offset:10368                   // 00000000F3A0: D8EC2880 8A00000C
	ds_read_b64 v[140:141], v12 offset:11264                   // 00000000F3A8: D8EC2C00 8C00000C
	ds_read_b64 v[142:143], v12 offset:11392                   // 00000000F3B0: D8EC2C80 8E00000C
	buffer_load_dwordx4 a[152:155], v198, s[20:23], 0 offen    // 00000000F3B8: E05C1000 808598C6
	buffer_load_dwordx4 a[156:159], v199, s[20:23], 0 offen    // 00000000F3C0: E05C1000 80859CC7
	s_waitcnt lgkmcnt(0)                                       // 00000000F3C8: BF8CC07F
	s_nop 8                                                    // 00000000F3CC: BF800008
	v_mov_b32_e32 v50, v144                                    // 00000000F3D0: 7E640390
	v_max3_f32 v50, v144, v145, v50                            // 00000000F3D4: D1D30032 04CB2390
	v_max3_f32 v50, v146, v147, v50                            // 00000000F3DC: D1D30032 04CB2792
	v_max3_f32 v50, v148, v149, v50                            // 00000000F3E4: D1D30032 04CB2B94
	v_max3_f32 v50, v150, v151, v50                            // 00000000F3EC: D1D30032 04CB2F96
	v_max3_f32 v50, v152, v153, v50                            // 00000000F3F4: D1D30032 04CB3398
	v_max3_f32 v50, v154, v155, v50                            // 00000000F3FC: D1D30032 04CB379A
	v_max3_f32 v50, v156, v157, v50                            // 00000000F404: D1D30032 04CB3B9C
	v_max3_f32 v50, v158, v159, v50                            // 00000000F40C: D1D30032 04CB3F9E
	ds_write_b32 v11, v50                                      // 00000000F414: D81A0000 0000320B
	s_waitcnt lgkmcnt(0)                                       // 00000000F41C: BF8CC07F
	s_barrier                                                  // 00000000F420: BF8A0000
	ds_read_b32 v64, v10                                       // 00000000F424: D86C0000 4000000A
	ds_read_b32 v65, v10 offset:64                             // 00000000F42C: D86C0040 4100000A
	ds_read_b32 v66, v10 offset:128                            // 00000000F434: D86C0080 4200000A
	ds_read_b32 v67, v10 offset:192                            // 00000000F43C: D86C00C0 4300000A
	ds_read_b32 v68, v10 offset:256                            // 00000000F444: D86C0100 4400000A
	ds_read_b32 v69, v10 offset:320                            // 00000000F44C: D86C0140 4500000A
	ds_read_b32 v70, v10 offset:384                            // 00000000F454: D86C0180 4600000A
	ds_read_b32 v71, v10 offset:448                            // 00000000F45C: D86C01C0 4700000A
	ds_read_b32 v72, v10 offset:512                            // 00000000F464: D86C0200 4800000A
	ds_read_b32 v73, v10 offset:576                            // 00000000F46C: D86C0240 4900000A
	ds_read_b32 v74, v10 offset:640                            // 00000000F474: D86C0280 4A00000A
	ds_read_b32 v75, v10 offset:704                            // 00000000F47C: D86C02C0 4B00000A
	ds_read_b32 v76, v10 offset:768                            // 00000000F484: D86C0300 4C00000A
	ds_read_b32 v77, v10 offset:832                            // 00000000F48C: D86C0340 4D00000A
	ds_read_b32 v78, v10 offset:896                            // 00000000F494: D86C0380 4E00000A
	ds_read_b32 v79, v10 offset:960                            // 00000000F49C: D86C03C0 4F00000A
	s_waitcnt lgkmcnt(0)                                       // 00000000F4A4: BF8CC07F
	v_max3_f32 v50, v64, v65, v50                              // 00000000F4A8: D1D30032 04CA8340
	v_max3_f32 v50, v66, v67, v50                              // 00000000F4B0: D1D30032 04CA8742
	v_max3_f32 v50, v68, v69, v50                              // 00000000F4B8: D1D30032 04CA8B44
	v_max3_f32 v50, v70, v71, v50                              // 00000000F4C0: D1D30032 04CA8F46
	v_max3_f32 v50, v72, v73, v50                              // 00000000F4C8: D1D30032 04CA9348
	v_max3_f32 v50, v74, v75, v50                              // 00000000F4D0: D1D30032 04CA974A
	v_max3_f32 v50, v76, v77, v50                              // 00000000F4D8: D1D30032 04CA9B4C
	v_max3_f32 v50, v78, v79, v50                              // 00000000F4E0: D1D30032 04CA9F4E
	v_cmp_eq_u32_e64 s[40:41], v55, v15                        // 00000000F4E8: D0CA0028 00021F37
	s_nop 1                                                    // 00000000F4F0: BF800001
	v_max_f32_e32 v16, v50, v15                                // 00000000F4F4: 16201F32
	v_sub_f32_e32 v52, v15, v16                                // 00000000F4F8: 0468210F
	v_cndmask_b32_e64 v52, v52, 0, s[40:41]                    // 00000000F4FC: D1000034 00A10134
	v_mov_b32_e32 v15, v16                                     // 00000000F504: 7E1E0310
	v_mul_f32_e32 v53, s64, v16                                // 00000000F508: 0A6A2040
	v_mul_f32_e32 v52, s64, v52                                // 00000000F50C: 0A686840
	v_exp_f32_e32 v52, v52                                     // 00000000F510: 7E684134
	v_fma_f32 v144, v144, s64, -v53                            // 00000000F514: D1CB0090 84D48190
	v_fma_f32 v145, v145, s64, -v53                            // 00000000F51C: D1CB0091 84D48191
	v_fma_f32 v146, v146, s64, -v53                            // 00000000F524: D1CB0092 84D48192
	v_fma_f32 v147, v147, s64, -v53                            // 00000000F52C: D1CB0093 84D48193
	v_fma_f32 v148, v148, s64, -v53                            // 00000000F534: D1CB0094 84D48194
	v_fma_f32 v149, v149, s64, -v53                            // 00000000F53C: D1CB0095 84D48195
	v_fma_f32 v150, v150, s64, -v53                            // 00000000F544: D1CB0096 84D48196
	v_fma_f32 v151, v151, s64, -v53                            // 00000000F54C: D1CB0097 84D48197
	v_fma_f32 v152, v152, s64, -v53                            // 00000000F554: D1CB0098 84D48198
	v_fma_f32 v153, v153, s64, -v53                            // 00000000F55C: D1CB0099 84D48199
	v_fma_f32 v154, v154, s64, -v53                            // 00000000F564: D1CB009A 84D4819A
	v_fma_f32 v155, v155, s64, -v53                            // 00000000F56C: D1CB009B 84D4819B
	v_fma_f32 v156, v156, s64, -v53                            // 00000000F574: D1CB009C 84D4819C
	v_fma_f32 v157, v157, s64, -v53                            // 00000000F57C: D1CB009D 84D4819D
	v_fma_f32 v158, v158, s64, -v53                            // 00000000F584: D1CB009E 84D4819E
	v_fma_f32 v159, v159, s64, -v53                            // 00000000F58C: D1CB009F 84D4819F
	v_exp_f32_e32 v144, v144                                   // 00000000F594: 7F204190
	v_exp_f32_e32 v145, v145                                   // 00000000F598: 7F224191
	v_exp_f32_e32 v146, v146                                   // 00000000F59C: 7F244192
	v_exp_f32_e32 v147, v147                                   // 00000000F5A0: 7F264193
	v_exp_f32_e32 v148, v148                                   // 00000000F5A4: 7F284194
	v_exp_f32_e32 v149, v149                                   // 00000000F5A8: 7F2A4195
	v_exp_f32_e32 v150, v150                                   // 00000000F5AC: 7F2C4196
	v_exp_f32_e32 v151, v151                                   // 00000000F5B0: 7F2E4197
	v_exp_f32_e32 v152, v152                                   // 00000000F5B4: 7F304198
	v_exp_f32_e32 v153, v153                                   // 00000000F5B8: 7F324199
	v_exp_f32_e32 v154, v154                                   // 00000000F5BC: 7F34419A
	v_exp_f32_e32 v155, v155                                   // 00000000F5C0: 7F36419B
	v_exp_f32_e32 v156, v156                                   // 00000000F5C4: 7F38419C
	v_exp_f32_e32 v157, v157                                   // 00000000F5C8: 7F3A419D
	v_exp_f32_e32 v158, v158                                   // 00000000F5CC: 7F3C419E
	v_exp_f32_e32 v159, v159                                   // 00000000F5D0: 7F3E419F
	v_mul_f32_e32 v44, v52, v44                                // 00000000F5D4: 0A585934
	v_mov_b32_e32 v45, v144                                    // 00000000F5D8: 7E5A0390
	v_add_f32_e32 v45, v145, v45                               // 00000000F5DC: 025A5B91
	v_add_f32_e32 v45, v146, v45                               // 00000000F5E0: 025A5B92
	v_add_f32_e32 v45, v147, v45                               // 00000000F5E4: 025A5B93
	v_add_f32_e32 v45, v148, v45                               // 00000000F5E8: 025A5B94
	v_add_f32_e32 v45, v149, v45                               // 00000000F5EC: 025A5B95
	v_add_f32_e32 v45, v150, v45                               // 00000000F5F0: 025A5B96
	v_add_f32_e32 v45, v151, v45                               // 00000000F5F4: 025A5B97
	v_add_f32_e32 v45, v152, v45                               // 00000000F5F8: 025A5B98
	v_add_f32_e32 v45, v153, v45                               // 00000000F5FC: 025A5B99
	v_add_f32_e32 v45, v154, v45                               // 00000000F600: 025A5B9A
	v_add_f32_e32 v45, v155, v45                               // 00000000F604: 025A5B9B
	v_add_f32_e32 v45, v156, v45                               // 00000000F608: 025A5B9C
	v_add_f32_e32 v45, v157, v45                               // 00000000F60C: 025A5B9D
	v_add_f32_e32 v45, v158, v45                               // 00000000F610: 025A5B9E
	v_add_f32_e32 v45, v159, v45                               // 00000000F614: 025A5B9F
	v_add_f32_e32 v44, v45, v44                                // 00000000F618: 0258592D
	v_cmp_u_f32_e64 s[40:41], v144, v144                       // 00000000F61C: D0480028 00032190
	v_add3_u32 v19, v144, v22, 1                               // 00000000F624: D1FF0013 02062D90
	v_cndmask_b32_e64 v39, v19, v21, s[40:41]                  // 00000000F62C: D1000027 00A22B13
	v_cmp_u_f32_e64 s[40:41], v145, v145                       // 00000000F634: D0480028 00032391
	v_add3_u32 v19, v145, v22, 1                               // 00000000F63C: D1FF0013 02062D91
	v_cndmask_b32_e64 v40, v19, v21, s[40:41]                  // 00000000F644: D1000028 00A22B13
	v_perm_b32 v144, v40, v39, s52                             // 00000000F64C: D1ED0090 00D24F28
	v_cmp_u_f32_e64 s[40:41], v146, v146                       // 00000000F654: D0480028 00032592
	v_add3_u32 v19, v146, v22, 1                               // 00000000F65C: D1FF0013 02062D92
	v_cndmask_b32_e64 v39, v19, v21, s[40:41]                  // 00000000F664: D1000027 00A22B13
	v_cmp_u_f32_e64 s[40:41], v147, v147                       // 00000000F66C: D0480028 00032793
	v_add3_u32 v19, v147, v22, 1                               // 00000000F674: D1FF0013 02062D93
	v_cndmask_b32_e64 v40, v19, v21, s[40:41]                  // 00000000F67C: D1000028 00A22B13
	v_perm_b32 v145, v40, v39, s52                             // 00000000F684: D1ED0091 00D24F28
	v_cmp_u_f32_e64 s[40:41], v148, v148                       // 00000000F68C: D0480028 00032994
	v_add3_u32 v19, v148, v22, 1                               // 00000000F694: D1FF0013 02062D94
	v_cndmask_b32_e64 v39, v19, v21, s[40:41]                  // 00000000F69C: D1000027 00A22B13
	v_cmp_u_f32_e64 s[40:41], v149, v149                       // 00000000F6A4: D0480028 00032B95
	v_add3_u32 v19, v149, v22, 1                               // 00000000F6AC: D1FF0013 02062D95
	v_cndmask_b32_e64 v40, v19, v21, s[40:41]                  // 00000000F6B4: D1000028 00A22B13
	v_perm_b32 v146, v40, v39, s52                             // 00000000F6BC: D1ED0092 00D24F28
	v_cmp_u_f32_e64 s[40:41], v150, v150                       // 00000000F6C4: D0480028 00032D96
	v_add3_u32 v19, v150, v22, 1                               // 00000000F6CC: D1FF0013 02062D96
	v_cndmask_b32_e64 v39, v19, v21, s[40:41]                  // 00000000F6D4: D1000027 00A22B13
	v_cmp_u_f32_e64 s[40:41], v151, v151                       // 00000000F6DC: D0480028 00032F97
	v_add3_u32 v19, v151, v22, 1                               // 00000000F6E4: D1FF0013 02062D97
	v_cndmask_b32_e64 v40, v19, v21, s[40:41]                  // 00000000F6EC: D1000028 00A22B13
	v_perm_b32 v147, v40, v39, s52                             // 00000000F6F4: D1ED0093 00D24F28
	v_cmp_u_f32_e64 s[40:41], v152, v152                       // 00000000F6FC: D0480028 00033198
	v_add3_u32 v19, v152, v22, 1                               // 00000000F704: D1FF0013 02062D98
	v_cndmask_b32_e64 v39, v19, v21, s[40:41]                  // 00000000F70C: D1000027 00A22B13
	v_cmp_u_f32_e64 s[40:41], v153, v153                       // 00000000F714: D0480028 00033399
	v_add3_u32 v19, v153, v22, 1                               // 00000000F71C: D1FF0013 02062D99
	v_cndmask_b32_e64 v40, v19, v21, s[40:41]                  // 00000000F724: D1000028 00A22B13
	v_perm_b32 v148, v40, v39, s52                             // 00000000F72C: D1ED0094 00D24F28
	v_cmp_u_f32_e64 s[40:41], v154, v154                       // 00000000F734: D0480028 0003359A
	v_add3_u32 v19, v154, v22, 1                               // 00000000F73C: D1FF0013 02062D9A
	v_cndmask_b32_e64 v39, v19, v21, s[40:41]                  // 00000000F744: D1000027 00A22B13
	v_cmp_u_f32_e64 s[40:41], v155, v155                       // 00000000F74C: D0480028 0003379B
	v_add3_u32 v19, v155, v22, 1                               // 00000000F754: D1FF0013 02062D9B
	v_cndmask_b32_e64 v40, v19, v21, s[40:41]                  // 00000000F75C: D1000028 00A22B13
	v_perm_b32 v149, v40, v39, s52                             // 00000000F764: D1ED0095 00D24F28
	v_cmp_u_f32_e64 s[40:41], v156, v156                       // 00000000F76C: D0480028 0003399C
	v_add3_u32 v19, v156, v22, 1                               // 00000000F774: D1FF0013 02062D9C
	v_cndmask_b32_e64 v39, v19, v21, s[40:41]                  // 00000000F77C: D1000027 00A22B13
	v_cmp_u_f32_e64 s[40:41], v157, v157                       // 00000000F784: D0480028 00033B9D
	v_add3_u32 v19, v157, v22, 1                               // 00000000F78C: D1FF0013 02062D9D
	v_cndmask_b32_e64 v40, v19, v21, s[40:41]                  // 00000000F794: D1000028 00A22B13
	v_perm_b32 v150, v40, v39, s52                             // 00000000F79C: D1ED0096 00D24F28
	v_cmp_u_f32_e64 s[40:41], v158, v158                       // 00000000F7A4: D0480028 00033D9E
	v_add3_u32 v19, v158, v22, 1                               // 00000000F7AC: D1FF0013 02062D9E
	v_cndmask_b32_e64 v39, v19, v21, s[40:41]                  // 00000000F7B4: D1000027 00A22B13
	v_cmp_u_f32_e64 s[40:41], v159, v159                       // 00000000F7BC: D0480028 00033F9F
	v_add3_u32 v19, v159, v22, 1                               // 00000000F7C4: D1FF0013 02062D9F
	v_cndmask_b32_e64 v40, v19, v21, s[40:41]                  // 00000000F7CC: D1000028 00A22B13
	v_perm_b32 v151, v40, v39, s52                             // 00000000F7D4: D1ED0097 00D24F28
	ds_write_b64 v13, v[144:145] offset:4096                   // 00000000F7DC: D89A1000 0000900D
	ds_write_b64 v13, v[146:147] offset:6144                   // 00000000F7E4: D89A1800 0000920D
	ds_write_b64 v13, v[148:149] offset:8192                   // 00000000F7EC: D89A2000 0000940D
	ds_write_b64 v13, v[150:151] offset:10240                  // 00000000F7F4: D89A2800 0000960D
	s_waitcnt lgkmcnt(0)                                       // 00000000F7FC: BF8CC07F
	s_barrier                                                  // 00000000F800: BF8A0000
	ds_read_b64 v[144:145], v12 offset:4096                    // 00000000F804: D8EC1000 9000000C
	ds_read_b64 v[146:147], v12 offset:4224                    // 00000000F80C: D8EC1080 9200000C
	ds_read_b64 v[148:149], v12 offset:5120                    // 00000000F814: D8EC1400 9400000C
	ds_read_b64 v[150:151], v12 offset:5248                    // 00000000F81C: D8EC1480 9600000C
	ds_read_b64 v[152:153], v12 offset:6144                    // 00000000F824: D8EC1800 9800000C
	ds_read_b64 v[154:155], v12 offset:6272                    // 00000000F82C: D8EC1880 9A00000C
	ds_read_b64 v[156:157], v12 offset:7168                    // 00000000F834: D8EC1C00 9C00000C
	ds_read_b64 v[158:159], v12 offset:7296                    // 00000000F83C: D8EC1C80 9E00000C
	ds_read_b64 v[160:161], v12 offset:8192                    // 00000000F844: D8EC2000 A000000C
	ds_read_b64 v[162:163], v12 offset:8320                    // 00000000F84C: D8EC2080 A200000C
	ds_read_b64 v[164:165], v12 offset:9216                    // 00000000F854: D8EC2400 A400000C
	ds_read_b64 v[166:167], v12 offset:9344                    // 00000000F85C: D8EC2480 A600000C
	ds_read_b64 v[168:169], v12 offset:10240                   // 00000000F864: D8EC2800 A800000C
	ds_read_b64 v[170:171], v12 offset:10368                   // 00000000F86C: D8EC2880 AA00000C
	ds_read_b64 v[172:173], v12 offset:11264                   // 00000000F874: D8EC2C00 AC00000C
	ds_read_b64 v[174:175], v12 offset:11392                   // 00000000F87C: D8EC2C80 AE00000C
	s_waitcnt lgkmcnt(0)                                       // 00000000F884: BF8CC07F
	v_mul_f32_e32 v176, v51, v176                              // 00000000F888: 0B616133
	v_mul_f32_e32 v177, v51, v177                              // 00000000F88C: 0B636333
	v_mul_f32_e32 v178, v51, v178                              // 00000000F890: 0B656533
	v_mul_f32_e32 v179, v51, v179                              // 00000000F894: 0B676733
	v_mul_f32_e32 v180, v51, v180                              // 00000000F898: 0B696933
	v_mul_f32_e32 v181, v51, v181                              // 00000000F89C: 0B6B6B33
	v_mul_f32_e32 v182, v51, v182                              // 00000000F8A0: 0B6D6D33
	v_mul_f32_e32 v183, v51, v183                              // 00000000F8A4: 0B6F6F33
	v_mul_f32_e32 v184, v52, v184                              // 00000000F8A8: 0B717134
	v_mul_f32_e32 v185, v52, v185                              // 00000000F8AC: 0B737334
	v_mul_f32_e32 v186, v52, v186                              // 00000000F8B0: 0B757534
	v_mul_f32_e32 v187, v52, v187                              // 00000000F8B4: 0B777734
	v_mul_f32_e32 v188, v52, v188                              // 00000000F8B8: 0B797934
	v_mul_f32_e32 v189, v52, v189                              // 00000000F8BC: 0B7B7B34
	v_mul_f32_e32 v190, v52, v190                              // 00000000F8C0: 0B7D7D34
	v_mul_f32_e32 v191, v52, v191                              // 00000000F8C4: 0B7F7F34
	s_waitcnt vmcnt(24)                                        // 00000000F8C8: BF8C4F78
	v_mfma_f32_16x16x16_bf16 v[176:179], a[192:193], v[112:113], v[176:179]// 00000000F8CC: D3E100B0 0EC2E1C0
	buffer_load_dwordx4 a[160:163], v192, s[20:23], 0 offen offset:1024// 00000000F8D4: E05C1400 8085A0C0
	v_mfma_f32_16x16x16_bf16 v[176:179], a[194:195], v[114:115], v[176:179]// 00000000F8DC: D3E100B0 0EC2E5C2
	v_mfma_f32_16x16x16_bf16 v[176:179], a[196:197], v[116:117], v[176:179]// 00000000F8E4: D3E100B0 0EC2E9C4
	v_mfma_f32_16x16x16_bf16 v[176:179], a[198:199], v[118:119], v[176:179]// 00000000F8EC: D3E100B0 0EC2EDC6
	v_mfma_f32_16x16x16_bf16 v[176:179], a[200:201], v[120:121], v[176:179]// 00000000F8F4: D3E100B0 0EC2F1C8
	buffer_load_dwordx4 a[164:167], v193, s[20:23], 0 offen offset:1024// 00000000F8FC: E05C1400 8085A4C1
	v_mfma_f32_16x16x16_bf16 v[176:179], a[202:203], v[122:123], v[176:179]// 00000000F904: D3E100B0 0EC2F5CA
	v_mfma_f32_16x16x16_bf16 v[176:179], a[204:205], v[124:125], v[176:179]// 00000000F90C: D3E100B0 0EC2F9CC
	v_mfma_f32_16x16x16_bf16 v[176:179], a[206:207], v[126:127], v[176:179]// 00000000F914: D3E100B0 0EC2FDCE
	v_mfma_f32_16x16x16_bf16 v[176:179], a[208:209], v[128:129], v[176:179]// 00000000F91C: D3E100B0 0EC301D0
	buffer_load_dwordx4 a[168:171], v194, s[20:23], 0 offen offset:1024// 00000000F924: E05C1400 8085A8C2
	v_mfma_f32_16x16x16_bf16 v[176:179], a[210:211], v[130:131], v[176:179]// 00000000F92C: D3E100B0 0EC305D2
	v_mfma_f32_16x16x16_bf16 v[176:179], a[212:213], v[132:133], v[176:179]// 00000000F934: D3E100B0 0EC309D4
	v_mfma_f32_16x16x16_bf16 v[176:179], a[214:215], v[134:135], v[176:179]// 00000000F93C: D3E100B0 0EC30DD6
	v_mfma_f32_16x16x16_bf16 v[176:179], a[216:217], v[136:137], v[176:179]// 00000000F944: D3E100B0 0EC311D8
	buffer_load_dwordx4 a[172:175], v195, s[20:23], 0 offen offset:1024// 00000000F94C: E05C1400 8085ACC3
	v_mfma_f32_16x16x16_bf16 v[176:179], a[218:219], v[138:139], v[176:179]// 00000000F954: D3E100B0 0EC315DA
	v_mfma_f32_16x16x16_bf16 v[176:179], a[220:221], v[140:141], v[176:179]// 00000000F95C: D3E100B0 0EC319DC
	v_mfma_f32_16x16x16_bf16 v[176:179], a[222:223], v[142:143], v[176:179]// 00000000F964: D3E100B0 0EC31DDE
	v_mfma_f32_16x16x16_bf16 v[180:183], a[224:225], v[112:113], v[180:183]// 00000000F96C: D3E100B4 0ED2E1E0
	buffer_load_dwordx4 a[176:179], v196, s[20:23], 0 offen offset:1024// 00000000F974: E05C1400 8085B0C4
	v_mfma_f32_16x16x16_bf16 v[180:183], a[226:227], v[114:115], v[180:183]// 00000000F97C: D3E100B4 0ED2E5E2
	v_mfma_f32_16x16x16_bf16 v[180:183], a[228:229], v[116:117], v[180:183]// 00000000F984: D3E100B4 0ED2E9E4
	v_mfma_f32_16x16x16_bf16 v[180:183], a[230:231], v[118:119], v[180:183]// 00000000F98C: D3E100B4 0ED2EDE6
	v_mfma_f32_16x16x16_bf16 v[180:183], a[232:233], v[120:121], v[180:183]// 00000000F994: D3E100B4 0ED2F1E8
	buffer_load_dwordx4 a[180:183], v197, s[20:23], 0 offen offset:1024// 00000000F99C: E05C1400 8085B4C5
	v_mfma_f32_16x16x16_bf16 v[180:183], a[234:235], v[122:123], v[180:183]// 00000000F9A4: D3E100B4 0ED2F5EA
	v_mfma_f32_16x16x16_bf16 v[180:183], a[236:237], v[124:125], v[180:183]// 00000000F9AC: D3E100B4 0ED2F9EC
	v_mfma_f32_16x16x16_bf16 v[180:183], a[238:239], v[126:127], v[180:183]// 00000000F9B4: D3E100B4 0ED2FDEE
	v_mfma_f32_16x16x16_bf16 v[180:183], a[240:241], v[128:129], v[180:183]// 00000000F9BC: D3E100B4 0ED301F0
	buffer_load_dwordx4 a[184:187], v198, s[20:23], 0 offen offset:1024// 00000000F9C4: E05C1400 8085B8C6
	v_mfma_f32_16x16x16_bf16 v[180:183], a[242:243], v[130:131], v[180:183]// 00000000F9CC: D3E100B4 0ED305F2
	v_mfma_f32_16x16x16_bf16 v[180:183], a[244:245], v[132:133], v[180:183]// 00000000F9D4: D3E100B4 0ED309F4
	v_mfma_f32_16x16x16_bf16 v[180:183], a[246:247], v[134:135], v[180:183]// 00000000F9DC: D3E100B4 0ED30DF6
	v_mfma_f32_16x16x16_bf16 v[180:183], a[248:249], v[136:137], v[180:183]// 00000000F9E4: D3E100B4 0ED311F8
	buffer_load_dwordx4 a[188:191], v199, s[20:23], 0 offen offset:1024// 00000000F9EC: E05C1400 8085BCC7
	v_mfma_f32_16x16x16_bf16 v[180:183], a[250:251], v[138:139], v[180:183]// 00000000F9F4: D3E100B4 0ED315FA
	v_mfma_f32_16x16x16_bf16 v[180:183], a[252:253], v[140:141], v[180:183]// 00000000F9FC: D3E100B4 0ED319FC
	v_mfma_f32_16x16x16_bf16 v[180:183], a[254:255], v[142:143], v[180:183]// 00000000FA04: D3E100B4 0ED31DFE
	v_mfma_f32_16x16x16_bf16 v[184:187], a[192:193], v[144:145], v[184:187]// 00000000FA0C: D3E100B8 0EE321C0
	v_mfma_f32_16x16x16_bf16 v[184:187], a[194:195], v[146:147], v[184:187]// 00000000FA14: D3E100B8 0EE325C2
	v_mfma_f32_16x16x16_bf16 v[184:187], a[196:197], v[148:149], v[184:187]// 00000000FA1C: D3E100B8 0EE329C4
	v_mfma_f32_16x16x16_bf16 v[184:187], a[198:199], v[150:151], v[184:187]// 00000000FA24: D3E100B8 0EE32DC6
	v_mfma_f32_16x16x16_bf16 v[184:187], a[200:201], v[152:153], v[184:187]// 00000000FA2C: D3E100B8 0EE331C8
	v_mfma_f32_16x16x16_bf16 v[184:187], a[202:203], v[154:155], v[184:187]// 00000000FA34: D3E100B8 0EE335CA
	v_mfma_f32_16x16x16_bf16 v[184:187], a[204:205], v[156:157], v[184:187]// 00000000FA3C: D3E100B8 0EE339CC
	v_mfma_f32_16x16x16_bf16 v[184:187], a[206:207], v[158:159], v[184:187]// 00000000FA44: D3E100B8 0EE33DCE
	v_mfma_f32_16x16x16_bf16 v[184:187], a[208:209], v[160:161], v[184:187]// 00000000FA4C: D3E100B8 0EE341D0
	v_mfma_f32_16x16x16_bf16 v[184:187], a[210:211], v[162:163], v[184:187]// 00000000FA54: D3E100B8 0EE345D2
	v_mfma_f32_16x16x16_bf16 v[184:187], a[212:213], v[164:165], v[184:187]// 00000000FA5C: D3E100B8 0EE349D4
	v_mfma_f32_16x16x16_bf16 v[184:187], a[214:215], v[166:167], v[184:187]// 00000000FA64: D3E100B8 0EE34DD6
	v_mfma_f32_16x16x16_bf16 v[184:187], a[216:217], v[168:169], v[184:187]// 00000000FA6C: D3E100B8 0EE351D8
	v_mfma_f32_16x16x16_bf16 v[184:187], a[218:219], v[170:171], v[184:187]// 00000000FA74: D3E100B8 0EE355DA
	v_mfma_f32_16x16x16_bf16 v[184:187], a[220:221], v[172:173], v[184:187]// 00000000FA7C: D3E100B8 0EE359DC
	v_mfma_f32_16x16x16_bf16 v[184:187], a[222:223], v[174:175], v[184:187]// 00000000FA84: D3E100B8 0EE35DDE
	v_mfma_f32_16x16x16_bf16 v[188:191], a[224:225], v[144:145], v[188:191]// 00000000FA8C: D3E100BC 0EF321E0
	v_mfma_f32_16x16x16_bf16 v[188:191], a[226:227], v[146:147], v[188:191]// 00000000FA94: D3E100BC 0EF325E2
	v_mfma_f32_16x16x16_bf16 v[188:191], a[228:229], v[148:149], v[188:191]// 00000000FA9C: D3E100BC 0EF329E4
	v_mfma_f32_16x16x16_bf16 v[188:191], a[230:231], v[150:151], v[188:191]// 00000000FAA4: D3E100BC 0EF32DE6
	v_mfma_f32_16x16x16_bf16 v[188:191], a[232:233], v[152:153], v[188:191]// 00000000FAAC: D3E100BC 0EF331E8
	v_mfma_f32_16x16x16_bf16 v[188:191], a[234:235], v[154:155], v[188:191]// 00000000FAB4: D3E100BC 0EF335EA
	v_mfma_f32_16x16x16_bf16 v[188:191], a[236:237], v[156:157], v[188:191]// 00000000FABC: D3E100BC 0EF339EC
	v_mfma_f32_16x16x16_bf16 v[188:191], a[238:239], v[158:159], v[188:191]// 00000000FAC4: D3E100BC 0EF33DEE
	v_mfma_f32_16x16x16_bf16 v[188:191], a[240:241], v[160:161], v[188:191]// 00000000FACC: D3E100BC 0EF341F0
	v_mfma_f32_16x16x16_bf16 v[188:191], a[242:243], v[162:163], v[188:191]// 00000000FAD4: D3E100BC 0EF345F2
	v_mfma_f32_16x16x16_bf16 v[188:191], a[244:245], v[164:165], v[188:191]// 00000000FADC: D3E100BC 0EF349F4
	v_mfma_f32_16x16x16_bf16 v[188:191], a[246:247], v[166:167], v[188:191]// 00000000FAE4: D3E100BC 0EF34DF6
	v_mfma_f32_16x16x16_bf16 v[188:191], a[248:249], v[168:169], v[188:191]// 00000000FAEC: D3E100BC 0EF351F8
	v_mfma_f32_16x16x16_bf16 v[188:191], a[250:251], v[170:171], v[188:191]// 00000000FAF4: D3E100BC 0EF355FA
	v_mfma_f32_16x16x16_bf16 v[188:191], a[252:253], v[172:173], v[188:191]// 00000000FAFC: D3E100BC 0EF359FC
	v_mfma_f32_16x16x16_bf16 v[188:191], a[254:255], v[174:175], v[188:191]// 00000000FB04: D3E100BC 0EF35DFE
	s_lshr_b32 s60, s70, 4                                     // 00000000FB0C: 8F3C8446
	s_add_u32 s60, 48, s60                                     // 00000000FB10: 803C3CB0
	s_cmp_ge_u32 s60, s73                                      // 00000000FB14: BF09493C
	s_cselect_b32 s56, 0, s56                                  // 00000000FB18: 85383880
	v_mul_u32_u24_dpp v39, v18, v54 row_newbcast:0 row_mask:0xf bank_mask:0xf// 00000000FB1C: 104E6CFA FF015012
	v_mul_u32_u24_dpp v40, v18, v54 row_newbcast:4 row_mask:0xf bank_mask:0xf// 00000000FB24: 10506CFA FF015412
	v_mul_u32_u24_dpp v41, v18, v54 row_newbcast:8 row_mask:0xf bank_mask:0xf// 00000000FB2C: 10526CFA FF015812
	v_mul_u32_u24_dpp v42, v18, v54 row_newbcast:12 row_mask:0xf bank_mask:0xf// 00000000FB34: 10546CFA FF015C12
	v_add_u32_e32 v27, v39, v6                                 // 00000000FB3C: 68360D27
	v_add_u32_e32 v28, v40, v6                                 // 00000000FB40: 68380D28
	v_add_u32_e32 v29, v41, v6                                 // 00000000FB44: 683A0D29
	v_add_u32_e32 v30, v42, v6                                 // 00000000FB48: 683C0D2A
	v_mul_u32_u24_dpp v39, v18, v54 row_newbcast:1 row_mask:0xf bank_mask:0xf// 00000000FB4C: 104E6CFA FF015112
	v_mul_u32_u24_dpp v40, v18, v54 row_newbcast:2 row_mask:0xf bank_mask:0xf// 00000000FB54: 10506CFA FF015212
	v_mul_u32_u24_dpp v41, v18, v54 row_newbcast:5 row_mask:0xf bank_mask:0xf// 00000000FB5C: 10526CFA FF015512
	v_mul_u32_u24_dpp v42, v18, v54 row_newbcast:6 row_mask:0xf bank_mask:0xf// 00000000FB64: 10546CFA FF015612
	v_add_u32_e32 v200, v39, v7                                // 00000000FB6C: 69900F27
	v_add_u32_e32 v201, v40, v7                                // 00000000FB70: 69920F28
	v_add_u32_e32 v202, v41, v7                                // 00000000FB74: 69940F29
	v_add_u32_e32 v203, v42, v7                                // 00000000FB78: 69960F2A
	v_mul_u32_u24_dpp v39, v18, v54 row_newbcast:9 row_mask:0xf bank_mask:0xf// 00000000FB7C: 104E6CFA FF015912
	v_mul_u32_u24_dpp v40, v18, v54 row_newbcast:10 row_mask:0xf bank_mask:0xf// 00000000FB84: 10506CFA FF015A12
	v_mul_u32_u24_dpp v41, v18, v54 row_newbcast:13 row_mask:0xf bank_mask:0xf// 00000000FB8C: 10526CFA FF015D12
	v_mul_u32_u24_dpp v42, v18, v54 row_newbcast:7 row_mask:0xf bank_mask:0xf// 00000000FB94: 10546CFA FF015712
	v_add_u32_e32 v204, v39, v7                                // 00000000FB9C: 69980F27
	v_add_u32_e32 v205, v40, v7                                // 00000000FBA0: 699A0F28
	v_add_u32_e32 v206, v41, v7                                // 00000000FBA4: 699C0F29
	v_add_u32_e32 v207, v42, v7                                // 00000000FBA8: 699E0F2A
	v_add_u32_e32 v1, s56, v1                                  // 00000000FBAC: 68020238
	s_addk_i32 s70, 0x100                                      // 00000000FBB0: B7460100
	s_cmp_lt_i32 s70, s71                                      // 00000000FBB4: BF044746
	s_cbranch_scc0 label_2CD7                                  // 00000000FBB8: BF84F667
	s_branch label_2CDA                                        // 00000000FBBC: BF82F669

000000000000fbc0 <label_3671>:
	s_lshr_b32 s60, s71, 4                                     // 00000000FBC0: 8F3C8447
	s_cmp_eq_i32 s60, s73                                      // 00000000FBC4: BF00493C
	s_cbranch_scc1 label_40E2                                  // 00000000FBC8: BF850A6E

000000000000fbcc <label_3674>:
	s_lshr_b32 s60, s71, 8                                     // 00000000FBCC: 8F3C8847
	s_and_b32 s60, s60, 1                                      // 00000000FBD0: 863C813C
	s_cmp_eq_i32 s60, 1                                        // 00000000FBD4: BF00813C
	s_cbranch_scc1 label_3BAD                                  // 00000000FBD8: BF850535
	s_waitcnt vmcnt(16) lgkmcnt(0)                             // 00000000FBDC: BF8C4070
	s_barrier                                                  // 00000000FBE0: BF8A0000
	v_mfma_f32_16x16x16_bf16 v[112:115], a[0:1], v[80:81], 0   // 00000000FBE4: D3E10070 0A02A100
	v_mfma_f32_16x16x16_bf16 v[112:115], a[2:3], v[82:83], v[112:115]// 00000000FBEC: D3E10070 0DC2A502
	v_mfma_f32_16x16x16_bf16 v[112:115], a[4:5], v[84:85], v[112:115]// 00000000FBF4: D3E10070 0DC2A904
	v_mfma_f32_16x16x16_bf16 v[112:115], a[6:7], v[86:87], v[112:115]// 00000000FBFC: D3E10070 0DC2AD06
	v_mfma_f32_16x16x16_bf16 v[112:115], a[8:9], v[88:89], v[112:115]// 00000000FC04: D3E10070 0DC2B108
	v_mfma_f32_16x16x16_bf16 v[112:115], a[10:11], v[90:91], v[112:115]// 00000000FC0C: D3E10070 0DC2B50A
	v_mfma_f32_16x16x16_bf16 v[112:115], a[12:13], v[92:93], v[112:115]// 00000000FC14: D3E10070 0DC2B90C
	v_mfma_f32_16x16x16_bf16 v[112:115], a[14:15], v[94:95], v[112:115]// 00000000FC1C: D3E10070 0DC2BD0E
	v_mfma_f32_16x16x16_bf16 v[116:119], a[16:17], v[80:81], 0 // 00000000FC24: D3E10074 0A02A110
	v_mfma_f32_16x16x16_bf16 v[116:119], a[18:19], v[82:83], v[116:119]// 00000000FC2C: D3E10074 0DD2A512
	v_mfma_f32_16x16x16_bf16 v[116:119], a[20:21], v[84:85], v[116:119]// 00000000FC34: D3E10074 0DD2A914
	v_mfma_f32_16x16x16_bf16 v[116:119], a[22:23], v[86:87], v[116:119]// 00000000FC3C: D3E10074 0DD2AD16
	v_mfma_f32_16x16x16_bf16 v[116:119], a[24:25], v[88:89], v[116:119]// 00000000FC44: D3E10074 0DD2B118
	v_mfma_f32_16x16x16_bf16 v[116:119], a[26:27], v[90:91], v[116:119]// 00000000FC4C: D3E10074 0DD2B51A
	v_mfma_f32_16x16x16_bf16 v[116:119], a[28:29], v[92:93], v[116:119]// 00000000FC54: D3E10074 0DD2B91C
	v_mfma_f32_16x16x16_bf16 v[116:119], a[30:31], v[94:95], v[116:119]// 00000000FC5C: D3E10074 0DD2BD1E
	v_mfma_f32_16x16x16_bf16 v[120:123], a[32:33], v[80:81], 0 // 00000000FC64: D3E10078 0A02A120
	v_mfma_f32_16x16x16_bf16 v[120:123], a[34:35], v[82:83], v[120:123]// 00000000FC6C: D3E10078 0DE2A522
	v_mfma_f32_16x16x16_bf16 v[120:123], a[36:37], v[84:85], v[120:123]// 00000000FC74: D3E10078 0DE2A924
	v_mfma_f32_16x16x16_bf16 v[120:123], a[38:39], v[86:87], v[120:123]// 00000000FC7C: D3E10078 0DE2AD26
	v_mfma_f32_16x16x16_bf16 v[120:123], a[40:41], v[88:89], v[120:123]// 00000000FC84: D3E10078 0DE2B128
	v_mfma_f32_16x16x16_bf16 v[120:123], a[42:43], v[90:91], v[120:123]// 00000000FC8C: D3E10078 0DE2B52A
	v_mfma_f32_16x16x16_bf16 v[120:123], a[44:45], v[92:93], v[120:123]// 00000000FC94: D3E10078 0DE2B92C
	v_mfma_f32_16x16x16_bf16 v[120:123], a[46:47], v[94:95], v[120:123]// 00000000FC9C: D3E10078 0DE2BD2E
	v_mfma_f32_16x16x16_bf16 v[124:127], a[48:49], v[80:81], 0 // 00000000FCA4: D3E1007C 0A02A130
	v_mfma_f32_16x16x16_bf16 v[124:127], a[50:51], v[82:83], v[124:127]// 00000000FCAC: D3E1007C 0DF2A532
	v_mfma_f32_16x16x16_bf16 v[124:127], a[52:53], v[84:85], v[124:127]// 00000000FCB4: D3E1007C 0DF2A934
	v_mfma_f32_16x16x16_bf16 v[124:127], a[54:55], v[86:87], v[124:127]// 00000000FCBC: D3E1007C 0DF2AD36
	v_mfma_f32_16x16x16_bf16 v[124:127], a[56:57], v[88:89], v[124:127]// 00000000FCC4: D3E1007C 0DF2B138
	v_mfma_f32_16x16x16_bf16 v[124:127], a[58:59], v[90:91], v[124:127]// 00000000FCCC: D3E1007C 0DF2B53A
	v_mfma_f32_16x16x16_bf16 v[124:127], a[60:61], v[92:93], v[124:127]// 00000000FCD4: D3E1007C 0DF2B93C
	v_mfma_f32_16x16x16_bf16 v[124:127], a[62:63], v[94:95], v[124:127]// 00000000FCDC: D3E1007C 0DF2BD3E
	v_mfma_f32_16x16x16_bf16 v[144:147], a[0:1], v[96:97], 0   // 00000000FCE4: D3E10090 0A02C100
	v_mfma_f32_16x16x16_bf16 v[144:147], a[2:3], v[98:99], v[144:147]// 00000000FCEC: D3E10090 0E42C502
	v_mfma_f32_16x16x16_bf16 v[144:147], a[4:5], v[100:101], v[144:147]// 00000000FCF4: D3E10090 0E42C904
	v_mfma_f32_16x16x16_bf16 v[144:147], a[6:7], v[102:103], v[144:147]// 00000000FCFC: D3E10090 0E42CD06
	v_mfma_f32_16x16x16_bf16 v[144:147], a[8:9], v[104:105], v[144:147]// 00000000FD04: D3E10090 0E42D108
	v_mfma_f32_16x16x16_bf16 v[144:147], a[10:11], v[106:107], v[144:147]// 00000000FD0C: D3E10090 0E42D50A
	v_mfma_f32_16x16x16_bf16 v[144:147], a[12:13], v[108:109], v[144:147]// 00000000FD14: D3E10090 0E42D90C
	v_mfma_f32_16x16x16_bf16 v[144:147], a[14:15], v[110:111], v[144:147]// 00000000FD1C: D3E10090 0E42DD0E
	v_mfma_f32_16x16x16_bf16 v[148:151], a[16:17], v[96:97], 0 // 00000000FD24: D3E10094 0A02C110
	v_mfma_f32_16x16x16_bf16 v[148:151], a[18:19], v[98:99], v[148:151]// 00000000FD2C: D3E10094 0E52C512
	v_mfma_f32_16x16x16_bf16 v[148:151], a[20:21], v[100:101], v[148:151]// 00000000FD34: D3E10094 0E52C914
	v_mfma_f32_16x16x16_bf16 v[148:151], a[22:23], v[102:103], v[148:151]// 00000000FD3C: D3E10094 0E52CD16
	v_mfma_f32_16x16x16_bf16 v[148:151], a[24:25], v[104:105], v[148:151]// 00000000FD44: D3E10094 0E52D118
	v_mfma_f32_16x16x16_bf16 v[148:151], a[26:27], v[106:107], v[148:151]// 00000000FD4C: D3E10094 0E52D51A
	v_mfma_f32_16x16x16_bf16 v[148:151], a[28:29], v[108:109], v[148:151]// 00000000FD54: D3E10094 0E52D91C
	v_mfma_f32_16x16x16_bf16 v[148:151], a[30:31], v[110:111], v[148:151]// 00000000FD5C: D3E10094 0E52DD1E
	v_mfma_f32_16x16x16_bf16 v[152:155], a[32:33], v[96:97], 0 // 00000000FD64: D3E10098 0A02C120
	v_mfma_f32_16x16x16_bf16 v[152:155], a[34:35], v[98:99], v[152:155]// 00000000FD6C: D3E10098 0E62C522
	v_mfma_f32_16x16x16_bf16 v[152:155], a[36:37], v[100:101], v[152:155]// 00000000FD74: D3E10098 0E62C924
	v_mfma_f32_16x16x16_bf16 v[152:155], a[38:39], v[102:103], v[152:155]// 00000000FD7C: D3E10098 0E62CD26
	v_mfma_f32_16x16x16_bf16 v[152:155], a[40:41], v[104:105], v[152:155]// 00000000FD84: D3E10098 0E62D128
	v_mfma_f32_16x16x16_bf16 v[152:155], a[42:43], v[106:107], v[152:155]// 00000000FD8C: D3E10098 0E62D52A
	v_mfma_f32_16x16x16_bf16 v[152:155], a[44:45], v[108:109], v[152:155]// 00000000FD94: D3E10098 0E62D92C
	v_mfma_f32_16x16x16_bf16 v[152:155], a[46:47], v[110:111], v[152:155]// 00000000FD9C: D3E10098 0E62DD2E
	v_mfma_f32_16x16x16_bf16 v[156:159], a[48:49], v[96:97], 0 // 00000000FDA4: D3E1009C 0A02C130
	v_mfma_f32_16x16x16_bf16 v[156:159], a[50:51], v[98:99], v[156:159]// 00000000FDAC: D3E1009C 0E72C532
	v_mfma_f32_16x16x16_bf16 v[156:159], a[52:53], v[100:101], v[156:159]// 00000000FDB4: D3E1009C 0E72C934
	v_mfma_f32_16x16x16_bf16 v[156:159], a[54:55], v[102:103], v[156:159]// 00000000FDBC: D3E1009C 0E72CD36
	v_mfma_f32_16x16x16_bf16 v[156:159], a[56:57], v[104:105], v[156:159]// 00000000FDC4: D3E1009C 0E72D138
	v_mfma_f32_16x16x16_bf16 v[156:159], a[58:59], v[106:107], v[156:159]// 00000000FDCC: D3E1009C 0E72D53A
	v_mfma_f32_16x16x16_bf16 v[156:159], a[60:61], v[108:109], v[156:159]// 00000000FDD4: D3E1009C 0E72D93C
	v_mfma_f32_16x16x16_bf16 v[156:159], a[62:63], v[110:111], v[156:159]// 00000000FDDC: D3E1009C 0E72DD3E
	s_cmp_le_i32 s90, s89                                      // 00000000FDE4: BF05595A
	s_cbranch_scc1 label_376F                                  // 00000000FDE8: BF850073
	v_mov_b32_e32 v55, 0xff800000                              // 00000000FDEC: 7E6E02FF FF800000
	s_mov_b32 s60, s90                                         // 00000000FDF4: BEBC005A
	s_add_u32 s61, s89, 0xff                                   // 00000000FDF8: 803DFF59 000000FF
	v_mov_b32_e32 v39, s61                                     // 00000000FE00: 7E4E023D
	v_lshrrev_b32_e32 v31, 4, v0                               // 00000000FE04: 203E0084
	v_mul_i32_i24_e32 v31, 4, v31                              // 00000000FE08: 0C3E3E84
	v_add_u32_e32 v31, s60, v31                                // 00000000FE0C: 683E3E3C
	v_and_b32_e32 v40, 15, v0                                  // 00000000FE10: 2650008F
	v_lshrrev_b32_e32 v40, 3, v40                              // 00000000FE14: 20505083
	s_mov_b32 s61, 0                                           // 00000000FE18: BEBD0080
	s_mul_i32 s60, 16, s7                                      // 00000000FE1C: 923C0790
	v_add_u32_e32 v40, s61, v40                                // 00000000FE20: 6850503D
	v_sub_u32_e32 v31, v31, v40                                // 00000000FE24: 6A3E511F
	v_add_u32_e32 v31, s60, v31                                // 00000000FE28: 683E3E3C
	v_add_u32_e32 v32, 1, v31                                  // 00000000FE2C: 68403E81
	v_add_u32_e32 v33, 2, v31                                  // 00000000FE30: 68423E82
	v_add_u32_e32 v34, 3, v31                                  // 00000000FE34: 68443E83
	v_cmp_le_u32_e64 s[40:41], v31, v39                        // 00000000FE38: D0CB0028 00024F1F
	v_add_u32_e32 v31, 64, v31                                 // 00000000FE40: 683E3EC0
	s_nop 0                                                    // 00000000FE44: BF800000
	v_cndmask_b32_e64 v112, v55, v112, s[40:41]                // 00000000FE48: D1000070 00A2E137
	v_cmp_le_u32_e64 s[40:41], v32, v39                        // 00000000FE50: D0CB0028 00024F20
	v_add_u32_e32 v32, 64, v32                                 // 00000000FE58: 684040C0
	s_nop 0                                                    // 00000000FE5C: BF800000
	v_cndmask_b32_e64 v113, v55, v113, s[40:41]                // 00000000FE60: D1000071 00A2E337
	v_cmp_le_u32_e64 s[40:41], v33, v39                        // 00000000FE68: D0CB0028 00024F21
	v_add_u32_e32 v33, 64, v33                                 // 00000000FE70: 684242C0
	s_nop 0                                                    // 00000000FE74: BF800000
	v_cndmask_b32_e64 v114, v55, v114, s[40:41]                // 00000000FE78: D1000072 00A2E537
	v_cmp_le_u32_e64 s[40:41], v34, v39                        // 00000000FE80: D0CB0028 00024F22
	v_add_u32_e32 v34, 64, v34                                 // 00000000FE88: 684444C0
	s_nop 0                                                    // 00000000FE8C: BF800000
	v_cndmask_b32_e64 v115, v55, v115, s[40:41]                // 00000000FE90: D1000073 00A2E737
	v_cmp_le_u32_e64 s[40:41], v31, v39                        // 00000000FE98: D0CB0028 00024F1F
	v_add_u32_e32 v31, 64, v31                                 // 00000000FEA0: 683E3EC0
	s_nop 0                                                    // 00000000FEA4: BF800000
	v_cndmask_b32_e64 v116, v55, v116, s[40:41]                // 00000000FEA8: D1000074 00A2E937
	v_cmp_le_u32_e64 s[40:41], v32, v39                        // 00000000FEB0: D0CB0028 00024F20
	v_add_u32_e32 v32, 64, v32                                 // 00000000FEB8: 684040C0
	s_nop 0                                                    // 00000000FEBC: BF800000
	v_cndmask_b32_e64 v117, v55, v117, s[40:41]                // 00000000FEC0: D1000075 00A2EB37
	v_cmp_le_u32_e64 s[40:41], v33, v39                        // 00000000FEC8: D0CB0028 00024F21
	v_add_u32_e32 v33, 64, v33                                 // 00000000FED0: 684242C0
	s_nop 0                                                    // 00000000FED4: BF800000
	v_cndmask_b32_e64 v118, v55, v118, s[40:41]                // 00000000FED8: D1000076 00A2ED37
	v_cmp_le_u32_e64 s[40:41], v34, v39                        // 00000000FEE0: D0CB0028 00024F22
	v_add_u32_e32 v34, 64, v34                                 // 00000000FEE8: 684444C0
	s_nop 0                                                    // 00000000FEEC: BF800000
	v_cndmask_b32_e64 v119, v55, v119, s[40:41]                // 00000000FEF0: D1000077 00A2EF37
	v_cmp_le_u32_e64 s[40:41], v31, v39                        // 00000000FEF8: D0CB0028 00024F1F
	v_add_u32_e32 v31, 64, v31                                 // 00000000FF00: 683E3EC0
	s_nop 0                                                    // 00000000FF04: BF800000
	v_cndmask_b32_e64 v120, v55, v120, s[40:41]                // 00000000FF08: D1000078 00A2F137
	v_cmp_le_u32_e64 s[40:41], v32, v39                        // 00000000FF10: D0CB0028 00024F20
	v_add_u32_e32 v32, 64, v32                                 // 00000000FF18: 684040C0
	s_nop 0                                                    // 00000000FF1C: BF800000
	v_cndmask_b32_e64 v121, v55, v121, s[40:41]                // 00000000FF20: D1000079 00A2F337
	v_cmp_le_u32_e64 s[40:41], v33, v39                        // 00000000FF28: D0CB0028 00024F21
	v_add_u32_e32 v33, 64, v33                                 // 00000000FF30: 684242C0
	s_nop 0                                                    // 00000000FF34: BF800000
	v_cndmask_b32_e64 v122, v55, v122, s[40:41]                // 00000000FF38: D100007A 00A2F537
	v_cmp_le_u32_e64 s[40:41], v34, v39                        // 00000000FF40: D0CB0028 00024F22
	v_add_u32_e32 v34, 64, v34                                 // 00000000FF48: 684444C0
	s_nop 0                                                    // 00000000FF4C: BF800000
	v_cndmask_b32_e64 v123, v55, v123, s[40:41]                // 00000000FF50: D100007B 00A2F737
	v_cmp_le_u32_e64 s[40:41], v31, v39                        // 00000000FF58: D0CB0028 00024F1F
	v_add_u32_e32 v31, 64, v31                                 // 00000000FF60: 683E3EC0
	s_nop 0                                                    // 00000000FF64: BF800000
	v_cndmask_b32_e64 v124, v55, v124, s[40:41]                // 00000000FF68: D100007C 00A2F937
	v_cmp_le_u32_e64 s[40:41], v32, v39                        // 00000000FF70: D0CB0028 00024F20
	v_add_u32_e32 v32, 64, v32                                 // 00000000FF78: 684040C0
	s_nop 0                                                    // 00000000FF7C: BF800000
	v_cndmask_b32_e64 v125, v55, v125, s[40:41]                // 00000000FF80: D100007D 00A2FB37
	v_cmp_le_u32_e64 s[40:41], v33, v39                        // 00000000FF88: D0CB0028 00024F21
	v_add_u32_e32 v33, 64, v33                                 // 00000000FF90: 684242C0
	s_nop 0                                                    // 00000000FF94: BF800000
	v_cndmask_b32_e64 v126, v55, v126, s[40:41]                // 00000000FF98: D100007E 00A2FD37
	v_cmp_le_u32_e64 s[40:41], v34, v39                        // 00000000FFA0: D0CB0028 00024F22
	v_add_u32_e32 v34, 64, v34                                 // 00000000FFA8: 684444C0
	s_nop 0                                                    // 00000000FFAC: BF800000
	v_cndmask_b32_e64 v127, v55, v127, s[40:41]                // 00000000FFB0: D100007F 00A2FF37

000000000000ffb8 <label_376F>:
	s_cmp_le_i32 s90, s89                                      // 00000000FFB8: BF05595A
	s_cbranch_scc1 label_37E4                                  // 00000000FFBC: BF850073
	v_mov_b32_e32 v55, 0xff800000                              // 00000000FFC0: 7E6E02FF FF800000
	s_mov_b32 s60, s90                                         // 00000000FFC8: BEBC005A
	s_add_u32 s61, s89, 0xff                                   // 00000000FFCC: 803DFF59 000000FF
	v_mov_b32_e32 v39, s61                                     // 00000000FFD4: 7E4E023D
	v_lshrrev_b32_e32 v31, 4, v0                               // 00000000FFD8: 203E0084
	v_mul_i32_i24_e32 v31, 4, v31                              // 00000000FFDC: 0C3E3E84
	v_add_u32_e32 v31, s60, v31                                // 00000000FFE0: 683E3E3C
	v_and_b32_e32 v40, 15, v0                                  // 00000000FFE4: 2650008F
	v_lshrrev_b32_e32 v40, 3, v40                              // 00000000FFE8: 20505083
	s_mov_b32 s61, 2                                           // 00000000FFEC: BEBD0082
	s_mul_i32 s60, 16, s7                                      // 00000000FFF0: 923C0790
	v_add_u32_e32 v40, s61, v40                                // 00000000FFF4: 6850503D
	v_sub_u32_e32 v31, v31, v40                                // 00000000FFF8: 6A3E511F
	v_add_u32_e32 v31, s60, v31                                // 00000000FFFC: 683E3E3C
	v_add_u32_e32 v32, 1, v31                                  // 000000010000: 68403E81
	v_add_u32_e32 v33, 2, v31                                  // 000000010004: 68423E82
	v_add_u32_e32 v34, 3, v31                                  // 000000010008: 68443E83
	v_cmp_le_u32_e64 s[40:41], v31, v39                        // 00000001000C: D0CB0028 00024F1F
	v_add_u32_e32 v31, 64, v31                                 // 000000010014: 683E3EC0
	s_nop 0                                                    // 000000010018: BF800000
	v_cndmask_b32_e64 v144, v55, v144, s[40:41]                // 00000001001C: D1000090 00A32137
	v_cmp_le_u32_e64 s[40:41], v32, v39                        // 000000010024: D0CB0028 00024F20
	v_add_u32_e32 v32, 64, v32                                 // 00000001002C: 684040C0
	s_nop 0                                                    // 000000010030: BF800000
	v_cndmask_b32_e64 v145, v55, v145, s[40:41]                // 000000010034: D1000091 00A32337
	v_cmp_le_u32_e64 s[40:41], v33, v39                        // 00000001003C: D0CB0028 00024F21
	v_add_u32_e32 v33, 64, v33                                 // 000000010044: 684242C0
	s_nop 0                                                    // 000000010048: BF800000
	v_cndmask_b32_e64 v146, v55, v146, s[40:41]                // 00000001004C: D1000092 00A32537
	v_cmp_le_u32_e64 s[40:41], v34, v39                        // 000000010054: D0CB0028 00024F22
	v_add_u32_e32 v34, 64, v34                                 // 00000001005C: 684444C0
	s_nop 0                                                    // 000000010060: BF800000
	v_cndmask_b32_e64 v147, v55, v147, s[40:41]                // 000000010064: D1000093 00A32737
	v_cmp_le_u32_e64 s[40:41], v31, v39                        // 00000001006C: D0CB0028 00024F1F
	v_add_u32_e32 v31, 64, v31                                 // 000000010074: 683E3EC0
	s_nop 0                                                    // 000000010078: BF800000
	v_cndmask_b32_e64 v148, v55, v148, s[40:41]                // 00000001007C: D1000094 00A32937
	v_cmp_le_u32_e64 s[40:41], v32, v39                        // 000000010084: D0CB0028 00024F20
	v_add_u32_e32 v32, 64, v32                                 // 00000001008C: 684040C0
	s_nop 0                                                    // 000000010090: BF800000
	v_cndmask_b32_e64 v149, v55, v149, s[40:41]                // 000000010094: D1000095 00A32B37
	v_cmp_le_u32_e64 s[40:41], v33, v39                        // 00000001009C: D0CB0028 00024F21
	v_add_u32_e32 v33, 64, v33                                 // 0000000100A4: 684242C0
	s_nop 0                                                    // 0000000100A8: BF800000
	v_cndmask_b32_e64 v150, v55, v150, s[40:41]                // 0000000100AC: D1000096 00A32D37
	v_cmp_le_u32_e64 s[40:41], v34, v39                        // 0000000100B4: D0CB0028 00024F22
	v_add_u32_e32 v34, 64, v34                                 // 0000000100BC: 684444C0
	s_nop 0                                                    // 0000000100C0: BF800000
	v_cndmask_b32_e64 v151, v55, v151, s[40:41]                // 0000000100C4: D1000097 00A32F37
	v_cmp_le_u32_e64 s[40:41], v31, v39                        // 0000000100CC: D0CB0028 00024F1F
	v_add_u32_e32 v31, 64, v31                                 // 0000000100D4: 683E3EC0
	s_nop 0                                                    // 0000000100D8: BF800000
	v_cndmask_b32_e64 v152, v55, v152, s[40:41]                // 0000000100DC: D1000098 00A33137
	v_cmp_le_u32_e64 s[40:41], v32, v39                        // 0000000100E4: D0CB0028 00024F20
	v_add_u32_e32 v32, 64, v32                                 // 0000000100EC: 684040C0
	s_nop 0                                                    // 0000000100F0: BF800000
	v_cndmask_b32_e64 v153, v55, v153, s[40:41]                // 0000000100F4: D1000099 00A33337
	v_cmp_le_u32_e64 s[40:41], v33, v39                        // 0000000100FC: D0CB0028 00024F21
	v_add_u32_e32 v33, 64, v33                                 // 000000010104: 684242C0
	s_nop 0                                                    // 000000010108: BF800000
	v_cndmask_b32_e64 v154, v55, v154, s[40:41]                // 00000001010C: D100009A 00A33537
	v_cmp_le_u32_e64 s[40:41], v34, v39                        // 000000010114: D0CB0028 00024F22
	v_add_u32_e32 v34, 64, v34                                 // 00000001011C: 684444C0
	s_nop 0                                                    // 000000010120: BF800000
	v_cndmask_b32_e64 v155, v55, v155, s[40:41]                // 000000010124: D100009B 00A33737
	v_cmp_le_u32_e64 s[40:41], v31, v39                        // 00000001012C: D0CB0028 00024F1F
	v_add_u32_e32 v31, 64, v31                                 // 000000010134: 683E3EC0
	s_nop 0                                                    // 000000010138: BF800000
	v_cndmask_b32_e64 v156, v55, v156, s[40:41]                // 00000001013C: D100009C 00A33937
	v_cmp_le_u32_e64 s[40:41], v32, v39                        // 000000010144: D0CB0028 00024F20
	v_add_u32_e32 v32, 64, v32                                 // 00000001014C: 684040C0
	s_nop 0                                                    // 000000010150: BF800000
	v_cndmask_b32_e64 v157, v55, v157, s[40:41]                // 000000010154: D100009D 00A33B37
	v_cmp_le_u32_e64 s[40:41], v33, v39                        // 00000001015C: D0CB0028 00024F21
	v_add_u32_e32 v33, 64, v33                                 // 000000010164: 684242C0
	s_nop 0                                                    // 000000010168: BF800000
	v_cndmask_b32_e64 v158, v55, v158, s[40:41]                // 00000001016C: D100009E 00A33D37
	v_cmp_le_u32_e64 s[40:41], v34, v39                        // 000000010174: D0CB0028 00024F22
	v_add_u32_e32 v34, 64, v34                                 // 00000001017C: 684444C0
	s_nop 0                                                    // 000000010180: BF800000
	v_cndmask_b32_e64 v159, v55, v159, s[40:41]                // 000000010184: D100009F 00A33F37

000000000001018c <label_37E4>:
	s_nop 8                                                    // 00000001018C: BF800008
	s_and_b32 s60, s72, 0xff                                   // 000000010190: 863CFF48 000000FF
	v_mov_b32_e32 v56, s60                                     // 000000010198: 7E70023C
	v_lshrrev_b32_e32 v31, 4, v0                               // 00000001019C: 203E0084
	v_mul_i32_i24_e32 v31, 4, v31                              // 0000000101A0: 0C3E3E84
	s_mul_i32 s60, s7, 16                                      // 0000000101A4: 923C9007
	v_add_u32_e32 v31, s60, v31                                // 0000000101A8: 683E3E3C
	v_add_u32_e32 v32, 1, v31                                  // 0000000101AC: 68403E81
	v_add_u32_e32 v33, 2, v31                                  // 0000000101B0: 68423E82
	v_add_u32_e32 v34, 3, v31                                  // 0000000101B4: 68443E83
	v_mov_b32_e32 v39, v55                                     // 0000000101B8: 7E4E0337
	v_cmp_lt_u32_e64 s[40:41], v31, v56                        // 0000000101BC: D0C90028 0002711F
	v_add_u32_e32 v31, 64, v31                                 // 0000000101C4: 683E3EC0
	s_nop 0                                                    // 0000000101C8: BF800000
	v_cndmask_b32_e64 v112, v39, v112, s[40:41]                // 0000000101CC: D1000070 00A2E127
	v_cmp_lt_u32_e64 s[40:41], v32, v56                        // 0000000101D4: D0C90028 00027120
	v_add_u32_e32 v32, 64, v32                                 // 0000000101DC: 684040C0
	s_nop 0                                                    // 0000000101E0: BF800000
	v_cndmask_b32_e64 v113, v39, v113, s[40:41]                // 0000000101E4: D1000071 00A2E327
	v_cmp_lt_u32_e64 s[40:41], v33, v56                        // 0000000101EC: D0C90028 00027121
	v_add_u32_e32 v33, 64, v33                                 // 0000000101F4: 684242C0
	s_nop 0                                                    // 0000000101F8: BF800000
	v_cndmask_b32_e64 v114, v39, v114, s[40:41]                // 0000000101FC: D1000072 00A2E527
	v_cmp_lt_u32_e64 s[40:41], v34, v56                        // 000000010204: D0C90028 00027122
	v_add_u32_e32 v34, 64, v34                                 // 00000001020C: 684444C0
	s_nop 0                                                    // 000000010210: BF800000
	v_cndmask_b32_e64 v115, v39, v115, s[40:41]                // 000000010214: D1000073 00A2E727
	v_cmp_lt_u32_e64 s[40:41], v31, v56                        // 00000001021C: D0C90028 0002711F
	v_add_u32_e32 v31, 64, v31                                 // 000000010224: 683E3EC0
	s_nop 0                                                    // 000000010228: BF800000
	v_cndmask_b32_e64 v116, v39, v116, s[40:41]                // 00000001022C: D1000074 00A2E927
	v_cmp_lt_u32_e64 s[40:41], v32, v56                        // 000000010234: D0C90028 00027120
	v_add_u32_e32 v32, 64, v32                                 // 00000001023C: 684040C0
	s_nop 0                                                    // 000000010240: BF800000
	v_cndmask_b32_e64 v117, v39, v117, s[40:41]                // 000000010244: D1000075 00A2EB27
	v_cmp_lt_u32_e64 s[40:41], v33, v56                        // 00000001024C: D0C90028 00027121
	v_add_u32_e32 v33, 64, v33                                 // 000000010254: 684242C0
	s_nop 0                                                    // 000000010258: BF800000
	v_cndmask_b32_e64 v118, v39, v118, s[40:41]                // 00000001025C: D1000076 00A2ED27
	v_cmp_lt_u32_e64 s[40:41], v34, v56                        // 000000010264: D0C90028 00027122
	v_add_u32_e32 v34, 64, v34                                 // 00000001026C: 684444C0
	s_nop 0                                                    // 000000010270: BF800000
	v_cndmask_b32_e64 v119, v39, v119, s[40:41]                // 000000010274: D1000077 00A2EF27
	v_cmp_lt_u32_e64 s[40:41], v31, v56                        // 00000001027C: D0C90028 0002711F
	v_add_u32_e32 v31, 64, v31                                 // 000000010284: 683E3EC0
	s_nop 0                                                    // 000000010288: BF800000
	v_cndmask_b32_e64 v120, v39, v120, s[40:41]                // 00000001028C: D1000078 00A2F127
	v_cmp_lt_u32_e64 s[40:41], v32, v56                        // 000000010294: D0C90028 00027120
	v_add_u32_e32 v32, 64, v32                                 // 00000001029C: 684040C0
	s_nop 0                                                    // 0000000102A0: BF800000
	v_cndmask_b32_e64 v121, v39, v121, s[40:41]                // 0000000102A4: D1000079 00A2F327
	v_cmp_lt_u32_e64 s[40:41], v33, v56                        // 0000000102AC: D0C90028 00027121
	v_add_u32_e32 v33, 64, v33                                 // 0000000102B4: 684242C0
	s_nop 0                                                    // 0000000102B8: BF800000
	v_cndmask_b32_e64 v122, v39, v122, s[40:41]                // 0000000102BC: D100007A 00A2F527
	v_cmp_lt_u32_e64 s[40:41], v34, v56                        // 0000000102C4: D0C90028 00027122
	v_add_u32_e32 v34, 64, v34                                 // 0000000102CC: 684444C0
	s_nop 0                                                    // 0000000102D0: BF800000
	v_cndmask_b32_e64 v123, v39, v123, s[40:41]                // 0000000102D4: D100007B 00A2F727
	v_cmp_lt_u32_e64 s[40:41], v31, v56                        // 0000000102DC: D0C90028 0002711F
	v_add_u32_e32 v31, 64, v31                                 // 0000000102E4: 683E3EC0
	s_nop 0                                                    // 0000000102E8: BF800000
	v_cndmask_b32_e64 v124, v39, v124, s[40:41]                // 0000000102EC: D100007C 00A2F927
	v_cmp_lt_u32_e64 s[40:41], v32, v56                        // 0000000102F4: D0C90028 00027120
	v_add_u32_e32 v32, 64, v32                                 // 0000000102FC: 684040C0
	s_nop 0                                                    // 000000010300: BF800000
	v_cndmask_b32_e64 v125, v39, v125, s[40:41]                // 000000010304: D100007D 00A2FB27
	v_cmp_lt_u32_e64 s[40:41], v33, v56                        // 00000001030C: D0C90028 00027121
	v_add_u32_e32 v33, 64, v33                                 // 000000010314: 684242C0
	s_nop 0                                                    // 000000010318: BF800000
	v_cndmask_b32_e64 v126, v39, v126, s[40:41]                // 00000001031C: D100007E 00A2FD27
	v_cmp_lt_u32_e64 s[40:41], v34, v56                        // 000000010324: D0C90028 00027122
	v_add_u32_e32 v34, 64, v34                                 // 00000001032C: 684444C0
	s_nop 0                                                    // 000000010330: BF800000
	v_cndmask_b32_e64 v127, v39, v127, s[40:41]                // 000000010334: D100007F 00A2FF27
	s_and_b32 s60, s72, 0xff                                   // 00000001033C: 863CFF48 000000FF
	v_mov_b32_e32 v56, s60                                     // 000000010344: 7E70023C
	v_lshrrev_b32_e32 v31, 4, v0                               // 000000010348: 203E0084
	v_mul_i32_i24_e32 v31, 4, v31                              // 00000001034C: 0C3E3E84
	s_mul_i32 s60, s7, 16                                      // 000000010350: 923C9007
	v_add_u32_e32 v31, s60, v31                                // 000000010354: 683E3E3C
	v_add_u32_e32 v32, 1, v31                                  // 000000010358: 68403E81
	v_add_u32_e32 v33, 2, v31                                  // 00000001035C: 68423E82
	v_add_u32_e32 v34, 3, v31                                  // 000000010360: 68443E83
	v_mov_b32_e32 v39, v55                                     // 000000010364: 7E4E0337
	v_cmp_lt_u32_e64 s[40:41], v31, v56                        // 000000010368: D0C90028 0002711F
	v_add_u32_e32 v31, 64, v31                                 // 000000010370: 683E3EC0
	s_nop 0                                                    // 000000010374: BF800000
	v_cndmask_b32_e64 v144, v39, v144, s[40:41]                // 000000010378: D1000090 00A32127
	v_cmp_lt_u32_e64 s[40:41], v32, v56                        // 000000010380: D0C90028 00027120
	v_add_u32_e32 v32, 64, v32                                 // 000000010388: 684040C0
	s_nop 0                                                    // 00000001038C: BF800000
	v_cndmask_b32_e64 v145, v39, v145, s[40:41]                // 000000010390: D1000091 00A32327
	v_cmp_lt_u32_e64 s[40:41], v33, v56                        // 000000010398: D0C90028 00027121
	v_add_u32_e32 v33, 64, v33                                 // 0000000103A0: 684242C0
	s_nop 0                                                    // 0000000103A4: BF800000
	v_cndmask_b32_e64 v146, v39, v146, s[40:41]                // 0000000103A8: D1000092 00A32527
	v_cmp_lt_u32_e64 s[40:41], v34, v56                        // 0000000103B0: D0C90028 00027122
	v_add_u32_e32 v34, 64, v34                                 // 0000000103B8: 684444C0
	s_nop 0                                                    // 0000000103BC: BF800000
	v_cndmask_b32_e64 v147, v39, v147, s[40:41]                // 0000000103C0: D1000093 00A32727
	v_cmp_lt_u32_e64 s[40:41], v31, v56                        // 0000000103C8: D0C90028 0002711F
	v_add_u32_e32 v31, 64, v31                                 // 0000000103D0: 683E3EC0
	s_nop 0                                                    // 0000000103D4: BF800000
	v_cndmask_b32_e64 v148, v39, v148, s[40:41]                // 0000000103D8: D1000094 00A32927
	v_cmp_lt_u32_e64 s[40:41], v32, v56                        // 0000000103E0: D0C90028 00027120
	v_add_u32_e32 v32, 64, v32                                 // 0000000103E8: 684040C0
	s_nop 0                                                    // 0000000103EC: BF800000
	v_cndmask_b32_e64 v149, v39, v149, s[40:41]                // 0000000103F0: D1000095 00A32B27
	v_cmp_lt_u32_e64 s[40:41], v33, v56                        // 0000000103F8: D0C90028 00027121
	v_add_u32_e32 v33, 64, v33                                 // 000000010400: 684242C0
	s_nop 0                                                    // 000000010404: BF800000
	v_cndmask_b32_e64 v150, v39, v150, s[40:41]                // 000000010408: D1000096 00A32D27
	v_cmp_lt_u32_e64 s[40:41], v34, v56                        // 000000010410: D0C90028 00027122
	v_add_u32_e32 v34, 64, v34                                 // 000000010418: 684444C0
	s_nop 0                                                    // 00000001041C: BF800000
	v_cndmask_b32_e64 v151, v39, v151, s[40:41]                // 000000010420: D1000097 00A32F27
	v_cmp_lt_u32_e64 s[40:41], v31, v56                        // 000000010428: D0C90028 0002711F
	v_add_u32_e32 v31, 64, v31                                 // 000000010430: 683E3EC0
	s_nop 0                                                    // 000000010434: BF800000
	v_cndmask_b32_e64 v152, v39, v152, s[40:41]                // 000000010438: D1000098 00A33127
	v_cmp_lt_u32_e64 s[40:41], v32, v56                        // 000000010440: D0C90028 00027120
	v_add_u32_e32 v32, 64, v32                                 // 000000010448: 684040C0
	s_nop 0                                                    // 00000001044C: BF800000
	v_cndmask_b32_e64 v153, v39, v153, s[40:41]                // 000000010450: D1000099 00A33327
	v_cmp_lt_u32_e64 s[40:41], v33, v56                        // 000000010458: D0C90028 00027121
	v_add_u32_e32 v33, 64, v33                                 // 000000010460: 684242C0
	s_nop 0                                                    // 000000010464: BF800000
	v_cndmask_b32_e64 v154, v39, v154, s[40:41]                // 000000010468: D100009A 00A33527
	v_cmp_lt_u32_e64 s[40:41], v34, v56                        // 000000010470: D0C90028 00027122
	v_add_u32_e32 v34, 64, v34                                 // 000000010478: 684444C0
	s_nop 0                                                    // 00000001047C: BF800000
	v_cndmask_b32_e64 v155, v39, v155, s[40:41]                // 000000010480: D100009B 00A33727
	v_cmp_lt_u32_e64 s[40:41], v31, v56                        // 000000010488: D0C90028 0002711F
	v_add_u32_e32 v31, 64, v31                                 // 000000010490: 683E3EC0
	s_nop 0                                                    // 000000010494: BF800000
	v_cndmask_b32_e64 v156, v39, v156, s[40:41]                // 000000010498: D100009C 00A33927
	v_cmp_lt_u32_e64 s[40:41], v32, v56                        // 0000000104A0: D0C90028 00027120
	v_add_u32_e32 v32, 64, v32                                 // 0000000104A8: 684040C0
	s_nop 0                                                    // 0000000104AC: BF800000
	v_cndmask_b32_e64 v157, v39, v157, s[40:41]                // 0000000104B0: D100009D 00A33B27
	v_cmp_lt_u32_e64 s[40:41], v33, v56                        // 0000000104B8: D0C90028 00027121
	v_add_u32_e32 v33, 64, v33                                 // 0000000104C0: 684242C0
	s_nop 0                                                    // 0000000104C4: BF800000
	v_cndmask_b32_e64 v158, v39, v158, s[40:41]                // 0000000104C8: D100009E 00A33D27
	v_cmp_lt_u32_e64 s[40:41], v34, v56                        // 0000000104D0: D0C90028 00027122
	v_add_u32_e32 v34, 64, v34                                 // 0000000104D8: 684444C0
	s_nop 0                                                    // 0000000104DC: BF800000
	v_cndmask_b32_e64 v159, v39, v159, s[40:41]                // 0000000104E0: D100009F 00A33F27
	s_nop 8                                                    // 0000000104E8: BF800008
	v_mov_b32_e32 v50, v112                                    // 0000000104EC: 7E640370
	v_max3_f32 v50, v112, v113, v50                            // 0000000104F0: D1D30032 04CAE370
	v_max3_f32 v50, v114, v115, v50                            // 0000000104F8: D1D30032 04CAE772
	v_max3_f32 v50, v116, v117, v50                            // 000000010500: D1D30032 04CAEB74
	v_max3_f32 v50, v118, v119, v50                            // 000000010508: D1D30032 04CAEF76
	v_max3_f32 v50, v120, v121, v50                            // 000000010510: D1D30032 04CAF378
	v_max3_f32 v50, v122, v123, v50                            // 000000010518: D1D30032 04CAF77A
	v_max3_f32 v50, v124, v125, v50                            // 000000010520: D1D30032 04CAFB7C
	v_max3_f32 v50, v126, v127, v50                            // 000000010528: D1D30032 04CAFF7E
	ds_write_b32 v11, v50                                      // 000000010530: D81A0000 0000320B
	s_waitcnt lgkmcnt(0)                                       // 000000010538: BF8CC07F
	s_barrier                                                  // 00000001053C: BF8A0000
	ds_read_b32 v64, v10                                       // 000000010540: D86C0000 4000000A
	ds_read_b32 v65, v10 offset:64                             // 000000010548: D86C0040 4100000A
	ds_read_b32 v66, v10 offset:128                            // 000000010550: D86C0080 4200000A
	ds_read_b32 v67, v10 offset:192                            // 000000010558: D86C00C0 4300000A
	ds_read_b32 v68, v10 offset:256                            // 000000010560: D86C0100 4400000A
	ds_read_b32 v69, v10 offset:320                            // 000000010568: D86C0140 4500000A
	ds_read_b32 v70, v10 offset:384                            // 000000010570: D86C0180 4600000A
	ds_read_b32 v71, v10 offset:448                            // 000000010578: D86C01C0 4700000A
	ds_read_b32 v72, v10 offset:512                            // 000000010580: D86C0200 4800000A
	ds_read_b32 v73, v10 offset:576                            // 000000010588: D86C0240 4900000A
	ds_read_b32 v74, v10 offset:640                            // 000000010590: D86C0280 4A00000A
	ds_read_b32 v75, v10 offset:704                            // 000000010598: D86C02C0 4B00000A
	ds_read_b32 v76, v10 offset:768                            // 0000000105A0: D86C0300 4C00000A
	ds_read_b32 v77, v10 offset:832                            // 0000000105A8: D86C0340 4D00000A
	ds_read_b32 v78, v10 offset:896                            // 0000000105B0: D86C0380 4E00000A
	ds_read_b32 v79, v10 offset:960                            // 0000000105B8: D86C03C0 4F00000A
	s_waitcnt lgkmcnt(0)                                       // 0000000105C0: BF8CC07F
	v_max3_f32 v50, v64, v65, v50                              // 0000000105C4: D1D30032 04CA8340
	v_max3_f32 v50, v66, v67, v50                              // 0000000105CC: D1D30032 04CA8742
	v_max3_f32 v50, v68, v69, v50                              // 0000000105D4: D1D30032 04CA8B44
	v_max3_f32 v50, v70, v71, v50                              // 0000000105DC: D1D30032 04CA8F46
	v_max3_f32 v50, v72, v73, v50                              // 0000000105E4: D1D30032 04CA9348
	v_max3_f32 v50, v74, v75, v50                              // 0000000105EC: D1D30032 04CA974A
	v_max3_f32 v50, v76, v77, v50                              // 0000000105F4: D1D30032 04CA9B4C
	v_max3_f32 v50, v78, v79, v50                              // 0000000105FC: D1D30032 04CA9F4E
	v_cmp_eq_u32_e64 s[40:41], v55, v14                        // 000000010604: D0CA0028 00021D37
	s_nop 1                                                    // 00000001060C: BF800001
	v_max_f32_e32 v16, v50, v14                                // 000000010610: 16201D32
	v_sub_f32_e32 v51, v14, v16                                // 000000010614: 0466210E
	v_cndmask_b32_e64 v51, v51, 0, s[40:41]                    // 000000010618: D1000033 00A10133
	v_mov_b32_e32 v14, v16                                     // 000000010620: 7E1C0310
	v_mul_f32_e32 v53, s64, v16                                // 000000010624: 0A6A2040
	v_mul_f32_e32 v51, s64, v51                                // 000000010628: 0A666640
	v_exp_f32_e32 v51, v51                                     // 00000001062C: 7E664133
	v_fma_f32 v112, v112, s64, -v53                            // 000000010630: D1CB0070 84D48170
	v_fma_f32 v113, v113, s64, -v53                            // 000000010638: D1CB0071 84D48171
	v_fma_f32 v114, v114, s64, -v53                            // 000000010640: D1CB0072 84D48172
	v_fma_f32 v115, v115, s64, -v53                            // 000000010648: D1CB0073 84D48173
	v_fma_f32 v116, v116, s64, -v53                            // 000000010650: D1CB0074 84D48174
	v_fma_f32 v117, v117, s64, -v53                            // 000000010658: D1CB0075 84D48175
	v_fma_f32 v118, v118, s64, -v53                            // 000000010660: D1CB0076 84D48176
	v_fma_f32 v119, v119, s64, -v53                            // 000000010668: D1CB0077 84D48177
	v_fma_f32 v120, v120, s64, -v53                            // 000000010670: D1CB0078 84D48178
	v_fma_f32 v121, v121, s64, -v53                            // 000000010678: D1CB0079 84D48179
	v_fma_f32 v122, v122, s64, -v53                            // 000000010680: D1CB007A 84D4817A
	v_fma_f32 v123, v123, s64, -v53                            // 000000010688: D1CB007B 84D4817B
	v_fma_f32 v124, v124, s64, -v53                            // 000000010690: D1CB007C 84D4817C
	v_fma_f32 v125, v125, s64, -v53                            // 000000010698: D1CB007D 84D4817D
	v_fma_f32 v126, v126, s64, -v53                            // 0000000106A0: D1CB007E 84D4817E
	v_fma_f32 v127, v127, s64, -v53                            // 0000000106A8: D1CB007F 84D4817F
	v_exp_f32_e32 v112, v112                                   // 0000000106B0: 7EE04170
	v_exp_f32_e32 v113, v113                                   // 0000000106B4: 7EE24171
	v_exp_f32_e32 v114, v114                                   // 0000000106B8: 7EE44172
	v_exp_f32_e32 v115, v115                                   // 0000000106BC: 7EE64173
	v_exp_f32_e32 v116, v116                                   // 0000000106C0: 7EE84174
	v_exp_f32_e32 v117, v117                                   // 0000000106C4: 7EEA4175
	v_exp_f32_e32 v118, v118                                   // 0000000106C8: 7EEC4176
	v_exp_f32_e32 v119, v119                                   // 0000000106CC: 7EEE4177
	v_exp_f32_e32 v120, v120                                   // 0000000106D0: 7EF04178
	v_exp_f32_e32 v121, v121                                   // 0000000106D4: 7EF24179
	v_exp_f32_e32 v122, v122                                   // 0000000106D8: 7EF4417A
	v_exp_f32_e32 v123, v123                                   // 0000000106DC: 7EF6417B
	v_exp_f32_e32 v124, v124                                   // 0000000106E0: 7EF8417C
	v_exp_f32_e32 v125, v125                                   // 0000000106E4: 7EFA417D
	v_exp_f32_e32 v126, v126                                   // 0000000106E8: 7EFC417E
	v_exp_f32_e32 v127, v127                                   // 0000000106EC: 7EFE417F
	v_mul_f32_e32 v43, v51, v43                                // 0000000106F0: 0A565733
	v_mov_b32_e32 v45, v112                                    // 0000000106F4: 7E5A0370
	v_add_f32_e32 v45, v113, v45                               // 0000000106F8: 025A5B71
	v_add_f32_e32 v45, v114, v45                               // 0000000106FC: 025A5B72
	v_add_f32_e32 v45, v115, v45                               // 000000010700: 025A5B73
	v_add_f32_e32 v45, v116, v45                               // 000000010704: 025A5B74
	v_add_f32_e32 v45, v117, v45                               // 000000010708: 025A5B75
	v_add_f32_e32 v45, v118, v45                               // 00000001070C: 025A5B76
	v_add_f32_e32 v45, v119, v45                               // 000000010710: 025A5B77
	v_add_f32_e32 v45, v120, v45                               // 000000010714: 025A5B78
	v_add_f32_e32 v45, v121, v45                               // 000000010718: 025A5B79
	v_add_f32_e32 v45, v122, v45                               // 00000001071C: 025A5B7A
	v_add_f32_e32 v45, v123, v45                               // 000000010720: 025A5B7B
	v_add_f32_e32 v45, v124, v45                               // 000000010724: 025A5B7C
	v_add_f32_e32 v45, v125, v45                               // 000000010728: 025A5B7D
	v_add_f32_e32 v45, v126, v45                               // 00000001072C: 025A5B7E
	v_add_f32_e32 v45, v127, v45                               // 000000010730: 025A5B7F
	v_add_f32_e32 v43, v45, v43                                // 000000010734: 0256572D
	v_cmp_u_f32_e64 s[40:41], v112, v112                       // 000000010738: D0480028 0002E170
	v_add3_u32 v19, v112, v22, 1                               // 000000010740: D1FF0013 02062D70
	v_cndmask_b32_e64 v39, v19, v21, s[40:41]                  // 000000010748: D1000027 00A22B13
	v_cmp_u_f32_e64 s[40:41], v113, v113                       // 000000010750: D0480028 0002E371
	v_add3_u32 v19, v113, v22, 1                               // 000000010758: D1FF0013 02062D71
	v_cndmask_b32_e64 v40, v19, v21, s[40:41]                  // 000000010760: D1000028 00A22B13
	v_perm_b32 v112, v40, v39, s52                             // 000000010768: D1ED0070 00D24F28
	v_cmp_u_f32_e64 s[40:41], v114, v114                       // 000000010770: D0480028 0002E572
	v_add3_u32 v19, v114, v22, 1                               // 000000010778: D1FF0013 02062D72
	v_cndmask_b32_e64 v39, v19, v21, s[40:41]                  // 000000010780: D1000027 00A22B13
	v_cmp_u_f32_e64 s[40:41], v115, v115                       // 000000010788: D0480028 0002E773
	v_add3_u32 v19, v115, v22, 1                               // 000000010790: D1FF0013 02062D73
	v_cndmask_b32_e64 v40, v19, v21, s[40:41]                  // 000000010798: D1000028 00A22B13
	v_perm_b32 v113, v40, v39, s52                             // 0000000107A0: D1ED0071 00D24F28
	v_cmp_u_f32_e64 s[40:41], v116, v116                       // 0000000107A8: D0480028 0002E974
	v_add3_u32 v19, v116, v22, 1                               // 0000000107B0: D1FF0013 02062D74
	v_cndmask_b32_e64 v39, v19, v21, s[40:41]                  // 0000000107B8: D1000027 00A22B13
	v_cmp_u_f32_e64 s[40:41], v117, v117                       // 0000000107C0: D0480028 0002EB75
	v_add3_u32 v19, v117, v22, 1                               // 0000000107C8: D1FF0013 02062D75
	v_cndmask_b32_e64 v40, v19, v21, s[40:41]                  // 0000000107D0: D1000028 00A22B13
	v_perm_b32 v114, v40, v39, s52                             // 0000000107D8: D1ED0072 00D24F28
	v_cmp_u_f32_e64 s[40:41], v118, v118                       // 0000000107E0: D0480028 0002ED76
	v_add3_u32 v19, v118, v22, 1                               // 0000000107E8: D1FF0013 02062D76
	v_cndmask_b32_e64 v39, v19, v21, s[40:41]                  // 0000000107F0: D1000027 00A22B13
	v_cmp_u_f32_e64 s[40:41], v119, v119                       // 0000000107F8: D0480028 0002EF77
	v_add3_u32 v19, v119, v22, 1                               // 000000010800: D1FF0013 02062D77
	v_cndmask_b32_e64 v40, v19, v21, s[40:41]                  // 000000010808: D1000028 00A22B13
	v_perm_b32 v115, v40, v39, s52                             // 000000010810: D1ED0073 00D24F28
	v_cmp_u_f32_e64 s[40:41], v120, v120                       // 000000010818: D0480028 0002F178
	v_add3_u32 v19, v120, v22, 1                               // 000000010820: D1FF0013 02062D78
	v_cndmask_b32_e64 v39, v19, v21, s[40:41]                  // 000000010828: D1000027 00A22B13
	v_cmp_u_f32_e64 s[40:41], v121, v121                       // 000000010830: D0480028 0002F379
	v_add3_u32 v19, v121, v22, 1                               // 000000010838: D1FF0013 02062D79
	v_cndmask_b32_e64 v40, v19, v21, s[40:41]                  // 000000010840: D1000028 00A22B13
	v_perm_b32 v116, v40, v39, s52                             // 000000010848: D1ED0074 00D24F28
	v_cmp_u_f32_e64 s[40:41], v122, v122                       // 000000010850: D0480028 0002F57A
	v_add3_u32 v19, v122, v22, 1                               // 000000010858: D1FF0013 02062D7A
	v_cndmask_b32_e64 v39, v19, v21, s[40:41]                  // 000000010860: D1000027 00A22B13
	v_cmp_u_f32_e64 s[40:41], v123, v123                       // 000000010868: D0480028 0002F77B
	v_add3_u32 v19, v123, v22, 1                               // 000000010870: D1FF0013 02062D7B
	v_cndmask_b32_e64 v40, v19, v21, s[40:41]                  // 000000010878: D1000028 00A22B13
	v_perm_b32 v117, v40, v39, s52                             // 000000010880: D1ED0075 00D24F28
	v_cmp_u_f32_e64 s[40:41], v124, v124                       // 000000010888: D0480028 0002F97C
	v_add3_u32 v19, v124, v22, 1                               // 000000010890: D1FF0013 02062D7C
	v_cndmask_b32_e64 v39, v19, v21, s[40:41]                  // 000000010898: D1000027 00A22B13
	v_cmp_u_f32_e64 s[40:41], v125, v125                       // 0000000108A0: D0480028 0002FB7D
	v_add3_u32 v19, v125, v22, 1                               // 0000000108A8: D1FF0013 02062D7D
	v_cndmask_b32_e64 v40, v19, v21, s[40:41]                  // 0000000108B0: D1000028 00A22B13
	v_perm_b32 v118, v40, v39, s52                             // 0000000108B8: D1ED0076 00D24F28
	v_cmp_u_f32_e64 s[40:41], v126, v126                       // 0000000108C0: D0480028 0002FD7E
	v_add3_u32 v19, v126, v22, 1                               // 0000000108C8: D1FF0013 02062D7E
	v_cndmask_b32_e64 v39, v19, v21, s[40:41]                  // 0000000108D0: D1000027 00A22B13
	v_cmp_u_f32_e64 s[40:41], v127, v127                       // 0000000108D8: D0480028 0002FF7F
	v_add3_u32 v19, v127, v22, 1                               // 0000000108E0: D1FF0013 02062D7F
	v_cndmask_b32_e64 v40, v19, v21, s[40:41]                  // 0000000108E8: D1000028 00A22B13
	v_perm_b32 v119, v40, v39, s52                             // 0000000108F0: D1ED0077 00D24F28
	ds_write_b64 v13, v[112:113] offset:4096                   // 0000000108F8: D89A1000 0000700D
	ds_write_b64 v13, v[114:115] offset:6144                   // 000000010900: D89A1800 0000720D
	ds_write_b64 v13, v[116:117] offset:8192                   // 000000010908: D89A2000 0000740D
	ds_write_b64 v13, v[118:119] offset:10240                  // 000000010910: D89A2800 0000760D
	s_waitcnt lgkmcnt(0)                                       // 000000010918: BF8CC07F
	s_barrier                                                  // 00000001091C: BF8A0000
	ds_read_b64 v[112:113], v12 offset:4096                    // 000000010920: D8EC1000 7000000C
	ds_read_b64 v[114:115], v12 offset:4224                    // 000000010928: D8EC1080 7200000C
	ds_read_b64 v[116:117], v12 offset:5120                    // 000000010930: D8EC1400 7400000C
	ds_read_b64 v[118:119], v12 offset:5248                    // 000000010938: D8EC1480 7600000C
	ds_read_b64 v[120:121], v12 offset:6144                    // 000000010940: D8EC1800 7800000C
	ds_read_b64 v[122:123], v12 offset:6272                    // 000000010948: D8EC1880 7A00000C
	ds_read_b64 v[124:125], v12 offset:7168                    // 000000010950: D8EC1C00 7C00000C
	ds_read_b64 v[126:127], v12 offset:7296                    // 000000010958: D8EC1C80 7E00000C
	ds_read_b64 v[128:129], v12 offset:8192                    // 000000010960: D8EC2000 8000000C
	ds_read_b64 v[130:131], v12 offset:8320                    // 000000010968: D8EC2080 8200000C
	ds_read_b64 v[132:133], v12 offset:9216                    // 000000010970: D8EC2400 8400000C
	ds_read_b64 v[134:135], v12 offset:9344                    // 000000010978: D8EC2480 8600000C
	ds_read_b64 v[136:137], v12 offset:10240                   // 000000010980: D8EC2800 8800000C
	ds_read_b64 v[138:139], v12 offset:10368                   // 000000010988: D8EC2880 8A00000C
	ds_read_b64 v[140:141], v12 offset:11264                   // 000000010990: D8EC2C00 8C00000C
	ds_read_b64 v[142:143], v12 offset:11392                   // 000000010998: D8EC2C80 8E00000C
	s_waitcnt lgkmcnt(0)                                       // 0000000109A0: BF8CC07F
	s_nop 8                                                    // 0000000109A4: BF800008
	v_mov_b32_e32 v50, v144                                    // 0000000109A8: 7E640390
	v_max3_f32 v50, v144, v145, v50                            // 0000000109AC: D1D30032 04CB2390
	v_max3_f32 v50, v146, v147, v50                            // 0000000109B4: D1D30032 04CB2792
	v_max3_f32 v50, v148, v149, v50                            // 0000000109BC: D1D30032 04CB2B94
	v_max3_f32 v50, v150, v151, v50                            // 0000000109C4: D1D30032 04CB2F96
	v_max3_f32 v50, v152, v153, v50                            // 0000000109CC: D1D30032 04CB3398
	v_max3_f32 v50, v154, v155, v50                            // 0000000109D4: D1D30032 04CB379A
	v_max3_f32 v50, v156, v157, v50                            // 0000000109DC: D1D30032 04CB3B9C
	v_max3_f32 v50, v158, v159, v50                            // 0000000109E4: D1D30032 04CB3F9E
	ds_write_b32 v11, v50                                      // 0000000109EC: D81A0000 0000320B
	s_waitcnt lgkmcnt(0)                                       // 0000000109F4: BF8CC07F
	s_barrier                                                  // 0000000109F8: BF8A0000
	ds_read_b32 v64, v10                                       // 0000000109FC: D86C0000 4000000A
	ds_read_b32 v65, v10 offset:64                             // 000000010A04: D86C0040 4100000A
	ds_read_b32 v66, v10 offset:128                            // 000000010A0C: D86C0080 4200000A
	ds_read_b32 v67, v10 offset:192                            // 000000010A14: D86C00C0 4300000A
	ds_read_b32 v68, v10 offset:256                            // 000000010A1C: D86C0100 4400000A
	ds_read_b32 v69, v10 offset:320                            // 000000010A24: D86C0140 4500000A
	ds_read_b32 v70, v10 offset:384                            // 000000010A2C: D86C0180 4600000A
	ds_read_b32 v71, v10 offset:448                            // 000000010A34: D86C01C0 4700000A
	ds_read_b32 v72, v10 offset:512                            // 000000010A3C: D86C0200 4800000A
	ds_read_b32 v73, v10 offset:576                            // 000000010A44: D86C0240 4900000A
	ds_read_b32 v74, v10 offset:640                            // 000000010A4C: D86C0280 4A00000A
	ds_read_b32 v75, v10 offset:704                            // 000000010A54: D86C02C0 4B00000A
	ds_read_b32 v76, v10 offset:768                            // 000000010A5C: D86C0300 4C00000A
	ds_read_b32 v77, v10 offset:832                            // 000000010A64: D86C0340 4D00000A
	ds_read_b32 v78, v10 offset:896                            // 000000010A6C: D86C0380 4E00000A
	ds_read_b32 v79, v10 offset:960                            // 000000010A74: D86C03C0 4F00000A
	s_waitcnt lgkmcnt(0)                                       // 000000010A7C: BF8CC07F
	v_max3_f32 v50, v64, v65, v50                              // 000000010A80: D1D30032 04CA8340
	v_max3_f32 v50, v66, v67, v50                              // 000000010A88: D1D30032 04CA8742
	v_max3_f32 v50, v68, v69, v50                              // 000000010A90: D1D30032 04CA8B44
	v_max3_f32 v50, v70, v71, v50                              // 000000010A98: D1D30032 04CA8F46
	v_max3_f32 v50, v72, v73, v50                              // 000000010AA0: D1D30032 04CA9348
	v_max3_f32 v50, v74, v75, v50                              // 000000010AA8: D1D30032 04CA974A
	v_max3_f32 v50, v76, v77, v50                              // 000000010AB0: D1D30032 04CA9B4C
	v_max3_f32 v50, v78, v79, v50                              // 000000010AB8: D1D30032 04CA9F4E
	v_cmp_eq_u32_e64 s[40:41], v55, v15                        // 000000010AC0: D0CA0028 00021F37
	s_nop 1                                                    // 000000010AC8: BF800001
	v_max_f32_e32 v16, v50, v15                                // 000000010ACC: 16201F32
	v_sub_f32_e32 v52, v15, v16                                // 000000010AD0: 0468210F
	v_cndmask_b32_e64 v52, v52, 0, s[40:41]                    // 000000010AD4: D1000034 00A10134
	v_mov_b32_e32 v15, v16                                     // 000000010ADC: 7E1E0310
	v_mul_f32_e32 v53, s64, v16                                // 000000010AE0: 0A6A2040
	v_mul_f32_e32 v52, s64, v52                                // 000000010AE4: 0A686840
	v_exp_f32_e32 v52, v52                                     // 000000010AE8: 7E684134
	v_fma_f32 v144, v144, s64, -v53                            // 000000010AEC: D1CB0090 84D48190
	v_fma_f32 v145, v145, s64, -v53                            // 000000010AF4: D1CB0091 84D48191
	v_fma_f32 v146, v146, s64, -v53                            // 000000010AFC: D1CB0092 84D48192
	v_fma_f32 v147, v147, s64, -v53                            // 000000010B04: D1CB0093 84D48193
	v_fma_f32 v148, v148, s64, -v53                            // 000000010B0C: D1CB0094 84D48194
	v_fma_f32 v149, v149, s64, -v53                            // 000000010B14: D1CB0095 84D48195
	v_fma_f32 v150, v150, s64, -v53                            // 000000010B1C: D1CB0096 84D48196
	v_fma_f32 v151, v151, s64, -v53                            // 000000010B24: D1CB0097 84D48197
	v_fma_f32 v152, v152, s64, -v53                            // 000000010B2C: D1CB0098 84D48198
	v_fma_f32 v153, v153, s64, -v53                            // 000000010B34: D1CB0099 84D48199
	v_fma_f32 v154, v154, s64, -v53                            // 000000010B3C: D1CB009A 84D4819A
	v_fma_f32 v155, v155, s64, -v53                            // 000000010B44: D1CB009B 84D4819B
	v_fma_f32 v156, v156, s64, -v53                            // 000000010B4C: D1CB009C 84D4819C
	v_fma_f32 v157, v157, s64, -v53                            // 000000010B54: D1CB009D 84D4819D
	v_fma_f32 v158, v158, s64, -v53                            // 000000010B5C: D1CB009E 84D4819E
	v_fma_f32 v159, v159, s64, -v53                            // 000000010B64: D1CB009F 84D4819F
	v_exp_f32_e32 v144, v144                                   // 000000010B6C: 7F204190
	v_exp_f32_e32 v145, v145                                   // 000000010B70: 7F224191
	v_exp_f32_e32 v146, v146                                   // 000000010B74: 7F244192
	v_exp_f32_e32 v147, v147                                   // 000000010B78: 7F264193
	v_exp_f32_e32 v148, v148                                   // 000000010B7C: 7F284194
	v_exp_f32_e32 v149, v149                                   // 000000010B80: 7F2A4195
	v_exp_f32_e32 v150, v150                                   // 000000010B84: 7F2C4196
	v_exp_f32_e32 v151, v151                                   // 000000010B88: 7F2E4197
	v_exp_f32_e32 v152, v152                                   // 000000010B8C: 7F304198
	v_exp_f32_e32 v153, v153                                   // 000000010B90: 7F324199
	v_exp_f32_e32 v154, v154                                   // 000000010B94: 7F34419A
	v_exp_f32_e32 v155, v155                                   // 000000010B98: 7F36419B
	v_exp_f32_e32 v156, v156                                   // 000000010B9C: 7F38419C
	v_exp_f32_e32 v157, v157                                   // 000000010BA0: 7F3A419D
	v_exp_f32_e32 v158, v158                                   // 000000010BA4: 7F3C419E
	v_exp_f32_e32 v159, v159                                   // 000000010BA8: 7F3E419F
	v_mul_f32_e32 v44, v52, v44                                // 000000010BAC: 0A585934
	v_mov_b32_e32 v45, v144                                    // 000000010BB0: 7E5A0390
	v_add_f32_e32 v45, v145, v45                               // 000000010BB4: 025A5B91
	v_add_f32_e32 v45, v146, v45                               // 000000010BB8: 025A5B92
	v_add_f32_e32 v45, v147, v45                               // 000000010BBC: 025A5B93
	v_add_f32_e32 v45, v148, v45                               // 000000010BC0: 025A5B94
	v_add_f32_e32 v45, v149, v45                               // 000000010BC4: 025A5B95
	v_add_f32_e32 v45, v150, v45                               // 000000010BC8: 025A5B96
	v_add_f32_e32 v45, v151, v45                               // 000000010BCC: 025A5B97
	v_add_f32_e32 v45, v152, v45                               // 000000010BD0: 025A5B98
	v_add_f32_e32 v45, v153, v45                               // 000000010BD4: 025A5B99
	v_add_f32_e32 v45, v154, v45                               // 000000010BD8: 025A5B9A
	v_add_f32_e32 v45, v155, v45                               // 000000010BDC: 025A5B9B
	v_add_f32_e32 v45, v156, v45                               // 000000010BE0: 025A5B9C
	v_add_f32_e32 v45, v157, v45                               // 000000010BE4: 025A5B9D
	v_add_f32_e32 v45, v158, v45                               // 000000010BE8: 025A5B9E
	v_add_f32_e32 v45, v159, v45                               // 000000010BEC: 025A5B9F
	v_add_f32_e32 v44, v45, v44                                // 000000010BF0: 0258592D
	v_cmp_u_f32_e64 s[40:41], v144, v144                       // 000000010BF4: D0480028 00032190
	v_add3_u32 v19, v144, v22, 1                               // 000000010BFC: D1FF0013 02062D90
	v_cndmask_b32_e64 v39, v19, v21, s[40:41]                  // 000000010C04: D1000027 00A22B13
	v_cmp_u_f32_e64 s[40:41], v145, v145                       // 000000010C0C: D0480028 00032391
	v_add3_u32 v19, v145, v22, 1                               // 000000010C14: D1FF0013 02062D91
	v_cndmask_b32_e64 v40, v19, v21, s[40:41]                  // 000000010C1C: D1000028 00A22B13
	v_perm_b32 v144, v40, v39, s52                             // 000000010C24: D1ED0090 00D24F28
	v_cmp_u_f32_e64 s[40:41], v146, v146                       // 000000010C2C: D0480028 00032592
	v_add3_u32 v19, v146, v22, 1                               // 000000010C34: D1FF0013 02062D92
	v_cndmask_b32_e64 v39, v19, v21, s[40:41]                  // 000000010C3C: D1000027 00A22B13
	v_cmp_u_f32_e64 s[40:41], v147, v147                       // 000000010C44: D0480028 00032793
	v_add3_u32 v19, v147, v22, 1                               // 000000010C4C: D1FF0013 02062D93
	v_cndmask_b32_e64 v40, v19, v21, s[40:41]                  // 000000010C54: D1000028 00A22B13
	v_perm_b32 v145, v40, v39, s52                             // 000000010C5C: D1ED0091 00D24F28
	v_cmp_u_f32_e64 s[40:41], v148, v148                       // 000000010C64: D0480028 00032994
	v_add3_u32 v19, v148, v22, 1                               // 000000010C6C: D1FF0013 02062D94
	v_cndmask_b32_e64 v39, v19, v21, s[40:41]                  // 000000010C74: D1000027 00A22B13
	v_cmp_u_f32_e64 s[40:41], v149, v149                       // 000000010C7C: D0480028 00032B95
	v_add3_u32 v19, v149, v22, 1                               // 000000010C84: D1FF0013 02062D95
	v_cndmask_b32_e64 v40, v19, v21, s[40:41]                  // 000000010C8C: D1000028 00A22B13
	v_perm_b32 v146, v40, v39, s52                             // 000000010C94: D1ED0092 00D24F28
	v_cmp_u_f32_e64 s[40:41], v150, v150                       // 000000010C9C: D0480028 00032D96
	v_add3_u32 v19, v150, v22, 1                               // 000000010CA4: D1FF0013 02062D96
	v_cndmask_b32_e64 v39, v19, v21, s[40:41]                  // 000000010CAC: D1000027 00A22B13
	v_cmp_u_f32_e64 s[40:41], v151, v151                       // 000000010CB4: D0480028 00032F97
	v_add3_u32 v19, v151, v22, 1                               // 000000010CBC: D1FF0013 02062D97
	v_cndmask_b32_e64 v40, v19, v21, s[40:41]                  // 000000010CC4: D1000028 00A22B13
	v_perm_b32 v147, v40, v39, s52                             // 000000010CCC: D1ED0093 00D24F28
	v_cmp_u_f32_e64 s[40:41], v152, v152                       // 000000010CD4: D0480028 00033198
	v_add3_u32 v19, v152, v22, 1                               // 000000010CDC: D1FF0013 02062D98
	v_cndmask_b32_e64 v39, v19, v21, s[40:41]                  // 000000010CE4: D1000027 00A22B13
	v_cmp_u_f32_e64 s[40:41], v153, v153                       // 000000010CEC: D0480028 00033399
	v_add3_u32 v19, v153, v22, 1                               // 000000010CF4: D1FF0013 02062D99
	v_cndmask_b32_e64 v40, v19, v21, s[40:41]                  // 000000010CFC: D1000028 00A22B13
	v_perm_b32 v148, v40, v39, s52                             // 000000010D04: D1ED0094 00D24F28
	v_cmp_u_f32_e64 s[40:41], v154, v154                       // 000000010D0C: D0480028 0003359A
	v_add3_u32 v19, v154, v22, 1                               // 000000010D14: D1FF0013 02062D9A
	v_cndmask_b32_e64 v39, v19, v21, s[40:41]                  // 000000010D1C: D1000027 00A22B13
	v_cmp_u_f32_e64 s[40:41], v155, v155                       // 000000010D24: D0480028 0003379B
	v_add3_u32 v19, v155, v22, 1                               // 000000010D2C: D1FF0013 02062D9B
	v_cndmask_b32_e64 v40, v19, v21, s[40:41]                  // 000000010D34: D1000028 00A22B13
	v_perm_b32 v149, v40, v39, s52                             // 000000010D3C: D1ED0095 00D24F28
	v_cmp_u_f32_e64 s[40:41], v156, v156                       // 000000010D44: D0480028 0003399C
	v_add3_u32 v19, v156, v22, 1                               // 000000010D4C: D1FF0013 02062D9C
	v_cndmask_b32_e64 v39, v19, v21, s[40:41]                  // 000000010D54: D1000027 00A22B13
	v_cmp_u_f32_e64 s[40:41], v157, v157                       // 000000010D5C: D0480028 00033B9D
	v_add3_u32 v19, v157, v22, 1                               // 000000010D64: D1FF0013 02062D9D
	v_cndmask_b32_e64 v40, v19, v21, s[40:41]                  // 000000010D6C: D1000028 00A22B13
	v_perm_b32 v150, v40, v39, s52                             // 000000010D74: D1ED0096 00D24F28
	v_cmp_u_f32_e64 s[40:41], v158, v158                       // 000000010D7C: D0480028 00033D9E
	v_add3_u32 v19, v158, v22, 1                               // 000000010D84: D1FF0013 02062D9E
	v_cndmask_b32_e64 v39, v19, v21, s[40:41]                  // 000000010D8C: D1000027 00A22B13
	v_cmp_u_f32_e64 s[40:41], v159, v159                       // 000000010D94: D0480028 00033F9F
	v_add3_u32 v19, v159, v22, 1                               // 000000010D9C: D1FF0013 02062D9F
	v_cndmask_b32_e64 v40, v19, v21, s[40:41]                  // 000000010DA4: D1000028 00A22B13
	v_perm_b32 v151, v40, v39, s52                             // 000000010DAC: D1ED0097 00D24F28
	ds_write_b64 v13, v[144:145] offset:4096                   // 000000010DB4: D89A1000 0000900D
	ds_write_b64 v13, v[146:147] offset:6144                   // 000000010DBC: D89A1800 0000920D
	ds_write_b64 v13, v[148:149] offset:8192                   // 000000010DC4: D89A2000 0000940D
	ds_write_b64 v13, v[150:151] offset:10240                  // 000000010DCC: D89A2800 0000960D
	s_waitcnt lgkmcnt(0)                                       // 000000010DD4: BF8CC07F
	s_barrier                                                  // 000000010DD8: BF8A0000
	ds_read_b64 v[144:145], v12 offset:4096                    // 000000010DDC: D8EC1000 9000000C
	ds_read_b64 v[146:147], v12 offset:4224                    // 000000010DE4: D8EC1080 9200000C
	ds_read_b64 v[148:149], v12 offset:5120                    // 000000010DEC: D8EC1400 9400000C
	ds_read_b64 v[150:151], v12 offset:5248                    // 000000010DF4: D8EC1480 9600000C
	ds_read_b64 v[152:153], v12 offset:6144                    // 000000010DFC: D8EC1800 9800000C
	ds_read_b64 v[154:155], v12 offset:6272                    // 000000010E04: D8EC1880 9A00000C
	ds_read_b64 v[156:157], v12 offset:7168                    // 000000010E0C: D8EC1C00 9C00000C
	ds_read_b64 v[158:159], v12 offset:7296                    // 000000010E14: D8EC1C80 9E00000C
	ds_read_b64 v[160:161], v12 offset:8192                    // 000000010E1C: D8EC2000 A000000C
	ds_read_b64 v[162:163], v12 offset:8320                    // 000000010E24: D8EC2080 A200000C
	ds_read_b64 v[164:165], v12 offset:9216                    // 000000010E2C: D8EC2400 A400000C
	ds_read_b64 v[166:167], v12 offset:9344                    // 000000010E34: D8EC2480 A600000C
	ds_read_b64 v[168:169], v12 offset:10240                   // 000000010E3C: D8EC2800 A800000C
	ds_read_b64 v[170:171], v12 offset:10368                   // 000000010E44: D8EC2880 AA00000C
	ds_read_b64 v[172:173], v12 offset:11264                   // 000000010E4C: D8EC2C00 AC00000C
	ds_read_b64 v[174:175], v12 offset:11392                   // 000000010E54: D8EC2C80 AE00000C
	s_waitcnt lgkmcnt(0)                                       // 000000010E5C: BF8CC07F
	v_mul_f32_e32 v176, v51, v176                              // 000000010E60: 0B616133
	v_mul_f32_e32 v177, v51, v177                              // 000000010E64: 0B636333
	v_mul_f32_e32 v178, v51, v178                              // 000000010E68: 0B656533
	v_mul_f32_e32 v179, v51, v179                              // 000000010E6C: 0B676733
	v_mul_f32_e32 v180, v51, v180                              // 000000010E70: 0B696933
	v_mul_f32_e32 v181, v51, v181                              // 000000010E74: 0B6B6B33
	v_mul_f32_e32 v182, v51, v182                              // 000000010E78: 0B6D6D33
	v_mul_f32_e32 v183, v51, v183                              // 000000010E7C: 0B6F6F33
	v_mul_f32_e32 v184, v52, v184                              // 000000010E80: 0B717134
	v_mul_f32_e32 v185, v52, v185                              // 000000010E84: 0B737334
	v_mul_f32_e32 v186, v52, v186                              // 000000010E88: 0B757534
	v_mul_f32_e32 v187, v52, v187                              // 000000010E8C: 0B777734
	v_mul_f32_e32 v188, v52, v188                              // 000000010E90: 0B797934
	v_mul_f32_e32 v189, v52, v189                              // 000000010E94: 0B7B7B34
	v_mul_f32_e32 v190, v52, v190                              // 000000010E98: 0B7D7D34
	v_mul_f32_e32 v191, v52, v191                              // 000000010E9C: 0B7F7F34
	s_waitcnt vmcnt(0)                                         // 000000010EA0: BF8C0F70
	s_barrier                                                  // 000000010EA4: BF8A0000
	v_mfma_f32_16x16x16_bf16 v[176:179], a[128:129], v[112:113], v[176:179]// 000000010EA8: D3E100B0 0EC2E180
	v_mfma_f32_16x16x16_bf16 v[176:179], a[130:131], v[114:115], v[176:179]// 000000010EB0: D3E100B0 0EC2E582
	v_mfma_f32_16x16x16_bf16 v[176:179], a[132:133], v[116:117], v[176:179]// 000000010EB8: D3E100B0 0EC2E984
	v_mfma_f32_16x16x16_bf16 v[176:179], a[134:135], v[118:119], v[176:179]// 000000010EC0: D3E100B0 0EC2ED86
	v_mfma_f32_16x16x16_bf16 v[176:179], a[136:137], v[120:121], v[176:179]// 000000010EC8: D3E100B0 0EC2F188
	v_mfma_f32_16x16x16_bf16 v[176:179], a[138:139], v[122:123], v[176:179]// 000000010ED0: D3E100B0 0EC2F58A
	v_mfma_f32_16x16x16_bf16 v[176:179], a[140:141], v[124:125], v[176:179]// 000000010ED8: D3E100B0 0EC2F98C
	v_mfma_f32_16x16x16_bf16 v[176:179], a[142:143], v[126:127], v[176:179]// 000000010EE0: D3E100B0 0EC2FD8E
	v_mfma_f32_16x16x16_bf16 v[176:179], a[144:145], v[128:129], v[176:179]// 000000010EE8: D3E100B0 0EC30190
	v_mfma_f32_16x16x16_bf16 v[176:179], a[146:147], v[130:131], v[176:179]// 000000010EF0: D3E100B0 0EC30592
	v_mfma_f32_16x16x16_bf16 v[176:179], a[148:149], v[132:133], v[176:179]// 000000010EF8: D3E100B0 0EC30994
	v_mfma_f32_16x16x16_bf16 v[176:179], a[150:151], v[134:135], v[176:179]// 000000010F00: D3E100B0 0EC30D96
	v_mfma_f32_16x16x16_bf16 v[176:179], a[152:153], v[136:137], v[176:179]// 000000010F08: D3E100B0 0EC31198
	v_mfma_f32_16x16x16_bf16 v[176:179], a[154:155], v[138:139], v[176:179]// 000000010F10: D3E100B0 0EC3159A
	v_mfma_f32_16x16x16_bf16 v[176:179], a[156:157], v[140:141], v[176:179]// 000000010F18: D3E100B0 0EC3199C
	v_mfma_f32_16x16x16_bf16 v[176:179], a[158:159], v[142:143], v[176:179]// 000000010F20: D3E100B0 0EC31D9E
	v_mfma_f32_16x16x16_bf16 v[180:183], a[160:161], v[112:113], v[180:183]// 000000010F28: D3E100B4 0ED2E1A0
	v_mfma_f32_16x16x16_bf16 v[180:183], a[162:163], v[114:115], v[180:183]// 000000010F30: D3E100B4 0ED2E5A2
	v_mfma_f32_16x16x16_bf16 v[180:183], a[164:165], v[116:117], v[180:183]// 000000010F38: D3E100B4 0ED2E9A4
	v_mfma_f32_16x16x16_bf16 v[180:183], a[166:167], v[118:119], v[180:183]// 000000010F40: D3E100B4 0ED2EDA6
	v_mfma_f32_16x16x16_bf16 v[180:183], a[168:169], v[120:121], v[180:183]// 000000010F48: D3E100B4 0ED2F1A8
	v_mfma_f32_16x16x16_bf16 v[180:183], a[170:171], v[122:123], v[180:183]// 000000010F50: D3E100B4 0ED2F5AA
	v_mfma_f32_16x16x16_bf16 v[180:183], a[172:173], v[124:125], v[180:183]// 000000010F58: D3E100B4 0ED2F9AC
	v_mfma_f32_16x16x16_bf16 v[180:183], a[174:175], v[126:127], v[180:183]// 000000010F60: D3E100B4 0ED2FDAE
	v_mfma_f32_16x16x16_bf16 v[180:183], a[176:177], v[128:129], v[180:183]// 000000010F68: D3E100B4 0ED301B0
	v_mfma_f32_16x16x16_bf16 v[180:183], a[178:179], v[130:131], v[180:183]// 000000010F70: D3E100B4 0ED305B2
	v_mfma_f32_16x16x16_bf16 v[180:183], a[180:181], v[132:133], v[180:183]// 000000010F78: D3E100B4 0ED309B4
	v_mfma_f32_16x16x16_bf16 v[180:183], a[182:183], v[134:135], v[180:183]// 000000010F80: D3E100B4 0ED30DB6
	v_mfma_f32_16x16x16_bf16 v[180:183], a[184:185], v[136:137], v[180:183]// 000000010F88: D3E100B4 0ED311B8
	v_mfma_f32_16x16x16_bf16 v[180:183], a[186:187], v[138:139], v[180:183]// 000000010F90: D3E100B4 0ED315BA
	v_mfma_f32_16x16x16_bf16 v[180:183], a[188:189], v[140:141], v[180:183]// 000000010F98: D3E100B4 0ED319BC
	v_mfma_f32_16x16x16_bf16 v[180:183], a[190:191], v[142:143], v[180:183]// 000000010FA0: D3E100B4 0ED31DBE
	v_mfma_f32_16x16x16_bf16 v[184:187], a[128:129], v[144:145], v[184:187]// 000000010FA8: D3E100B8 0EE32180
	v_mfma_f32_16x16x16_bf16 v[184:187], a[130:131], v[146:147], v[184:187]// 000000010FB0: D3E100B8 0EE32582
	v_mfma_f32_16x16x16_bf16 v[184:187], a[132:133], v[148:149], v[184:187]// 000000010FB8: D3E100B8 0EE32984
	v_mfma_f32_16x16x16_bf16 v[184:187], a[134:135], v[150:151], v[184:187]// 000000010FC0: D3E100B8 0EE32D86
	v_mfma_f32_16x16x16_bf16 v[184:187], a[136:137], v[152:153], v[184:187]// 000000010FC8: D3E100B8 0EE33188
	v_mfma_f32_16x16x16_bf16 v[184:187], a[138:139], v[154:155], v[184:187]// 000000010FD0: D3E100B8 0EE3358A
	v_mfma_f32_16x16x16_bf16 v[184:187], a[140:141], v[156:157], v[184:187]// 000000010FD8: D3E100B8 0EE3398C
	v_mfma_f32_16x16x16_bf16 v[184:187], a[142:143], v[158:159], v[184:187]// 000000010FE0: D3E100B8 0EE33D8E
	v_mfma_f32_16x16x16_bf16 v[184:187], a[144:145], v[160:161], v[184:187]// 000000010FE8: D3E100B8 0EE34190
	v_mfma_f32_16x16x16_bf16 v[184:187], a[146:147], v[162:163], v[184:187]// 000000010FF0: D3E100B8 0EE34592
	v_mfma_f32_16x16x16_bf16 v[184:187], a[148:149], v[164:165], v[184:187]// 000000010FF8: D3E100B8 0EE34994
	v_mfma_f32_16x16x16_bf16 v[184:187], a[150:151], v[166:167], v[184:187]// 000000011000: D3E100B8 0EE34D96
	v_mfma_f32_16x16x16_bf16 v[184:187], a[152:153], v[168:169], v[184:187]// 000000011008: D3E100B8 0EE35198
	v_mfma_f32_16x16x16_bf16 v[184:187], a[154:155], v[170:171], v[184:187]// 000000011010: D3E100B8 0EE3559A
	v_mfma_f32_16x16x16_bf16 v[184:187], a[156:157], v[172:173], v[184:187]// 000000011018: D3E100B8 0EE3599C
	v_mfma_f32_16x16x16_bf16 v[184:187], a[158:159], v[174:175], v[184:187]// 000000011020: D3E100B8 0EE35D9E
	v_mfma_f32_16x16x16_bf16 v[188:191], a[160:161], v[144:145], v[188:191]// 000000011028: D3E100BC 0EF321A0
	v_mfma_f32_16x16x16_bf16 v[188:191], a[162:163], v[146:147], v[188:191]// 000000011030: D3E100BC 0EF325A2
	v_mfma_f32_16x16x16_bf16 v[188:191], a[164:165], v[148:149], v[188:191]// 000000011038: D3E100BC 0EF329A4
	v_mfma_f32_16x16x16_bf16 v[188:191], a[166:167], v[150:151], v[188:191]// 000000011040: D3E100BC 0EF32DA6
	v_mfma_f32_16x16x16_bf16 v[188:191], a[168:169], v[152:153], v[188:191]// 000000011048: D3E100BC 0EF331A8
	v_mfma_f32_16x16x16_bf16 v[188:191], a[170:171], v[154:155], v[188:191]// 000000011050: D3E100BC 0EF335AA
	v_mfma_f32_16x16x16_bf16 v[188:191], a[172:173], v[156:157], v[188:191]// 000000011058: D3E100BC 0EF339AC
	v_mfma_f32_16x16x16_bf16 v[188:191], a[174:175], v[158:159], v[188:191]// 000000011060: D3E100BC 0EF33DAE
	v_mfma_f32_16x16x16_bf16 v[188:191], a[176:177], v[160:161], v[188:191]// 000000011068: D3E100BC 0EF341B0
	v_mfma_f32_16x16x16_bf16 v[188:191], a[178:179], v[162:163], v[188:191]// 000000011070: D3E100BC 0EF345B2
	v_mfma_f32_16x16x16_bf16 v[188:191], a[180:181], v[164:165], v[188:191]// 000000011078: D3E100BC 0EF349B4
	v_mfma_f32_16x16x16_bf16 v[188:191], a[182:183], v[166:167], v[188:191]// 000000011080: D3E100BC 0EF34DB6
	v_mfma_f32_16x16x16_bf16 v[188:191], a[184:185], v[168:169], v[188:191]// 000000011088: D3E100BC 0EF351B8
	v_mfma_f32_16x16x16_bf16 v[188:191], a[186:187], v[170:171], v[188:191]// 000000011090: D3E100BC 0EF355BA
	v_mfma_f32_16x16x16_bf16 v[188:191], a[188:189], v[172:173], v[188:191]// 000000011098: D3E100BC 0EF359BC
	v_mfma_f32_16x16x16_bf16 v[188:191], a[190:191], v[174:175], v[188:191]// 0000000110A0: D3E100BC 0EF35DBE
	s_nop 8                                                    // 0000000110A8: BF800008
	s_branch label_40E2                                        // 0000000110AC: BF820535

00000000000110b0 <label_3BAD>:
	s_waitcnt vmcnt(16) lgkmcnt(0)                             // 0000000110B0: BF8C4070
	s_barrier                                                  // 0000000110B4: BF8A0000
	v_mfma_f32_16x16x16_bf16 v[112:115], a[64:65], v[80:81], 0 // 0000000110B8: D3E10070 0A02A140
	v_mfma_f32_16x16x16_bf16 v[112:115], a[66:67], v[82:83], v[112:115]// 0000000110C0: D3E10070 0DC2A542
	v_mfma_f32_16x16x16_bf16 v[112:115], a[68:69], v[84:85], v[112:115]// 0000000110C8: D3E10070 0DC2A944
	v_mfma_f32_16x16x16_bf16 v[112:115], a[70:71], v[86:87], v[112:115]// 0000000110D0: D3E10070 0DC2AD46
	v_mfma_f32_16x16x16_bf16 v[112:115], a[72:73], v[88:89], v[112:115]// 0000000110D8: D3E10070 0DC2B148
	v_mfma_f32_16x16x16_bf16 v[112:115], a[74:75], v[90:91], v[112:115]// 0000000110E0: D3E10070 0DC2B54A
	v_mfma_f32_16x16x16_bf16 v[112:115], a[76:77], v[92:93], v[112:115]// 0000000110E8: D3E10070 0DC2B94C
	v_mfma_f32_16x16x16_bf16 v[112:115], a[78:79], v[94:95], v[112:115]// 0000000110F0: D3E10070 0DC2BD4E
	v_mfma_f32_16x16x16_bf16 v[116:119], a[80:81], v[80:81], 0 // 0000000110F8: D3E10074 0A02A150
	v_mfma_f32_16x16x16_bf16 v[116:119], a[82:83], v[82:83], v[116:119]// 000000011100: D3E10074 0DD2A552
	v_mfma_f32_16x16x16_bf16 v[116:119], a[84:85], v[84:85], v[116:119]// 000000011108: D3E10074 0DD2A954
	v_mfma_f32_16x16x16_bf16 v[116:119], a[86:87], v[86:87], v[116:119]// 000000011110: D3E10074 0DD2AD56
	v_mfma_f32_16x16x16_bf16 v[116:119], a[88:89], v[88:89], v[116:119]// 000000011118: D3E10074 0DD2B158
	v_mfma_f32_16x16x16_bf16 v[116:119], a[90:91], v[90:91], v[116:119]// 000000011120: D3E10074 0DD2B55A
	v_mfma_f32_16x16x16_bf16 v[116:119], a[92:93], v[92:93], v[116:119]// 000000011128: D3E10074 0DD2B95C
	v_mfma_f32_16x16x16_bf16 v[116:119], a[94:95], v[94:95], v[116:119]// 000000011130: D3E10074 0DD2BD5E
	v_mfma_f32_16x16x16_bf16 v[120:123], a[96:97], v[80:81], 0 // 000000011138: D3E10078 0A02A160
	v_mfma_f32_16x16x16_bf16 v[120:123], a[98:99], v[82:83], v[120:123]// 000000011140: D3E10078 0DE2A562
	v_mfma_f32_16x16x16_bf16 v[120:123], a[100:101], v[84:85], v[120:123]// 000000011148: D3E10078 0DE2A964
	v_mfma_f32_16x16x16_bf16 v[120:123], a[102:103], v[86:87], v[120:123]// 000000011150: D3E10078 0DE2AD66
	v_mfma_f32_16x16x16_bf16 v[120:123], a[104:105], v[88:89], v[120:123]// 000000011158: D3E10078 0DE2B168
	v_mfma_f32_16x16x16_bf16 v[120:123], a[106:107], v[90:91], v[120:123]// 000000011160: D3E10078 0DE2B56A
	v_mfma_f32_16x16x16_bf16 v[120:123], a[108:109], v[92:93], v[120:123]// 000000011168: D3E10078 0DE2B96C
	v_mfma_f32_16x16x16_bf16 v[120:123], a[110:111], v[94:95], v[120:123]// 000000011170: D3E10078 0DE2BD6E
	v_mfma_f32_16x16x16_bf16 v[124:127], a[112:113], v[80:81], 0// 000000011178: D3E1007C 0A02A170
	v_mfma_f32_16x16x16_bf16 v[124:127], a[114:115], v[82:83], v[124:127]// 000000011180: D3E1007C 0DF2A572
	v_mfma_f32_16x16x16_bf16 v[124:127], a[116:117], v[84:85], v[124:127]// 000000011188: D3E1007C 0DF2A974
	v_mfma_f32_16x16x16_bf16 v[124:127], a[118:119], v[86:87], v[124:127]// 000000011190: D3E1007C 0DF2AD76
	v_mfma_f32_16x16x16_bf16 v[124:127], a[120:121], v[88:89], v[124:127]// 000000011198: D3E1007C 0DF2B178
	v_mfma_f32_16x16x16_bf16 v[124:127], a[122:123], v[90:91], v[124:127]// 0000000111A0: D3E1007C 0DF2B57A
	v_mfma_f32_16x16x16_bf16 v[124:127], a[124:125], v[92:93], v[124:127]// 0000000111A8: D3E1007C 0DF2B97C
	v_mfma_f32_16x16x16_bf16 v[124:127], a[126:127], v[94:95], v[124:127]// 0000000111B0: D3E1007C 0DF2BD7E
	v_mfma_f32_16x16x16_bf16 v[144:147], a[64:65], v[96:97], 0 // 0000000111B8: D3E10090 0A02C140
	v_mfma_f32_16x16x16_bf16 v[144:147], a[66:67], v[98:99], v[144:147]// 0000000111C0: D3E10090 0E42C542
	v_mfma_f32_16x16x16_bf16 v[144:147], a[68:69], v[100:101], v[144:147]// 0000000111C8: D3E10090 0E42C944
	v_mfma_f32_16x16x16_bf16 v[144:147], a[70:71], v[102:103], v[144:147]// 0000000111D0: D3E10090 0E42CD46
	v_mfma_f32_16x16x16_bf16 v[144:147], a[72:73], v[104:105], v[144:147]// 0000000111D8: D3E10090 0E42D148
	v_mfma_f32_16x16x16_bf16 v[144:147], a[74:75], v[106:107], v[144:147]// 0000000111E0: D3E10090 0E42D54A
	v_mfma_f32_16x16x16_bf16 v[144:147], a[76:77], v[108:109], v[144:147]// 0000000111E8: D3E10090 0E42D94C
	v_mfma_f32_16x16x16_bf16 v[144:147], a[78:79], v[110:111], v[144:147]// 0000000111F0: D3E10090 0E42DD4E
	v_mfma_f32_16x16x16_bf16 v[148:151], a[80:81], v[96:97], 0 // 0000000111F8: D3E10094 0A02C150
	v_mfma_f32_16x16x16_bf16 v[148:151], a[82:83], v[98:99], v[148:151]// 000000011200: D3E10094 0E52C552
	v_mfma_f32_16x16x16_bf16 v[148:151], a[84:85], v[100:101], v[148:151]// 000000011208: D3E10094 0E52C954
	v_mfma_f32_16x16x16_bf16 v[148:151], a[86:87], v[102:103], v[148:151]// 000000011210: D3E10094 0E52CD56
	v_mfma_f32_16x16x16_bf16 v[148:151], a[88:89], v[104:105], v[148:151]// 000000011218: D3E10094 0E52D158
	v_mfma_f32_16x16x16_bf16 v[148:151], a[90:91], v[106:107], v[148:151]// 000000011220: D3E10094 0E52D55A
	v_mfma_f32_16x16x16_bf16 v[148:151], a[92:93], v[108:109], v[148:151]// 000000011228: D3E10094 0E52D95C
	v_mfma_f32_16x16x16_bf16 v[148:151], a[94:95], v[110:111], v[148:151]// 000000011230: D3E10094 0E52DD5E
	v_mfma_f32_16x16x16_bf16 v[152:155], a[96:97], v[96:97], 0 // 000000011238: D3E10098 0A02C160
	v_mfma_f32_16x16x16_bf16 v[152:155], a[98:99], v[98:99], v[152:155]// 000000011240: D3E10098 0E62C562
	v_mfma_f32_16x16x16_bf16 v[152:155], a[100:101], v[100:101], v[152:155]// 000000011248: D3E10098 0E62C964
	v_mfma_f32_16x16x16_bf16 v[152:155], a[102:103], v[102:103], v[152:155]// 000000011250: D3E10098 0E62CD66
	v_mfma_f32_16x16x16_bf16 v[152:155], a[104:105], v[104:105], v[152:155]// 000000011258: D3E10098 0E62D168
	v_mfma_f32_16x16x16_bf16 v[152:155], a[106:107], v[106:107], v[152:155]// 000000011260: D3E10098 0E62D56A
	v_mfma_f32_16x16x16_bf16 v[152:155], a[108:109], v[108:109], v[152:155]// 000000011268: D3E10098 0E62D96C
	v_mfma_f32_16x16x16_bf16 v[152:155], a[110:111], v[110:111], v[152:155]// 000000011270: D3E10098 0E62DD6E
	v_mfma_f32_16x16x16_bf16 v[156:159], a[112:113], v[96:97], 0// 000000011278: D3E1009C 0A02C170
	v_mfma_f32_16x16x16_bf16 v[156:159], a[114:115], v[98:99], v[156:159]// 000000011280: D3E1009C 0E72C572
	v_mfma_f32_16x16x16_bf16 v[156:159], a[116:117], v[100:101], v[156:159]// 000000011288: D3E1009C 0E72C974
	v_mfma_f32_16x16x16_bf16 v[156:159], a[118:119], v[102:103], v[156:159]// 000000011290: D3E1009C 0E72CD76
	v_mfma_f32_16x16x16_bf16 v[156:159], a[120:121], v[104:105], v[156:159]// 000000011298: D3E1009C 0E72D178
	v_mfma_f32_16x16x16_bf16 v[156:159], a[122:123], v[106:107], v[156:159]// 0000000112A0: D3E1009C 0E72D57A
	v_mfma_f32_16x16x16_bf16 v[156:159], a[124:125], v[108:109], v[156:159]// 0000000112A8: D3E1009C 0E72D97C
	v_mfma_f32_16x16x16_bf16 v[156:159], a[126:127], v[110:111], v[156:159]// 0000000112B0: D3E1009C 0E72DD7E
	s_cmp_le_i32 s90, s89                                      // 0000000112B8: BF05595A
	s_cbranch_scc1 label_3CA4                                  // 0000000112BC: BF850073
	v_mov_b32_e32 v55, 0xff800000                              // 0000000112C0: 7E6E02FF FF800000
	s_mov_b32 s60, s90                                         // 0000000112C8: BEBC005A
	s_add_u32 s61, s89, 0xff                                   // 0000000112CC: 803DFF59 000000FF
	v_mov_b32_e32 v39, s61                                     // 0000000112D4: 7E4E023D
	v_lshrrev_b32_e32 v31, 4, v0                               // 0000000112D8: 203E0084
	v_mul_i32_i24_e32 v31, 4, v31                              // 0000000112DC: 0C3E3E84
	v_add_u32_e32 v31, s60, v31                                // 0000000112E0: 683E3E3C
	v_and_b32_e32 v40, 15, v0                                  // 0000000112E4: 2650008F
	v_lshrrev_b32_e32 v40, 3, v40                              // 0000000112E8: 20505083
	s_mov_b32 s61, 0                                           // 0000000112EC: BEBD0080
	s_mul_i32 s60, 16, s7                                      // 0000000112F0: 923C0790
	v_add_u32_e32 v40, s61, v40                                // 0000000112F4: 6850503D
	v_sub_u32_e32 v31, v31, v40                                // 0000000112F8: 6A3E511F
	v_add_u32_e32 v31, s60, v31                                // 0000000112FC: 683E3E3C
	v_add_u32_e32 v32, 1, v31                                  // 000000011300: 68403E81
	v_add_u32_e32 v33, 2, v31                                  // 000000011304: 68423E82
	v_add_u32_e32 v34, 3, v31                                  // 000000011308: 68443E83
	v_cmp_le_u32_e64 s[40:41], v31, v39                        // 00000001130C: D0CB0028 00024F1F
	v_add_u32_e32 v31, 64, v31                                 // 000000011314: 683E3EC0
	s_nop 0                                                    // 000000011318: BF800000
	v_cndmask_b32_e64 v112, v55, v112, s[40:41]                // 00000001131C: D1000070 00A2E137
	v_cmp_le_u32_e64 s[40:41], v32, v39                        // 000000011324: D0CB0028 00024F20
	v_add_u32_e32 v32, 64, v32                                 // 00000001132C: 684040C0
	s_nop 0                                                    // 000000011330: BF800000
	v_cndmask_b32_e64 v113, v55, v113, s[40:41]                // 000000011334: D1000071 00A2E337
	v_cmp_le_u32_e64 s[40:41], v33, v39                        // 00000001133C: D0CB0028 00024F21
	v_add_u32_e32 v33, 64, v33                                 // 000000011344: 684242C0
	s_nop 0                                                    // 000000011348: BF800000
	v_cndmask_b32_e64 v114, v55, v114, s[40:41]                // 00000001134C: D1000072 00A2E537
	v_cmp_le_u32_e64 s[40:41], v34, v39                        // 000000011354: D0CB0028 00024F22
	v_add_u32_e32 v34, 64, v34                                 // 00000001135C: 684444C0
	s_nop 0                                                    // 000000011360: BF800000
	v_cndmask_b32_e64 v115, v55, v115, s[40:41]                // 000000011364: D1000073 00A2E737
	v_cmp_le_u32_e64 s[40:41], v31, v39                        // 00000001136C: D0CB0028 00024F1F
	v_add_u32_e32 v31, 64, v31                                 // 000000011374: 683E3EC0
	s_nop 0                                                    // 000000011378: BF800000
	v_cndmask_b32_e64 v116, v55, v116, s[40:41]                // 00000001137C: D1000074 00A2E937
	v_cmp_le_u32_e64 s[40:41], v32, v39                        // 000000011384: D0CB0028 00024F20
	v_add_u32_e32 v32, 64, v32                                 // 00000001138C: 684040C0
	s_nop 0                                                    // 000000011390: BF800000
	v_cndmask_b32_e64 v117, v55, v117, s[40:41]                // 000000011394: D1000075 00A2EB37
	v_cmp_le_u32_e64 s[40:41], v33, v39                        // 00000001139C: D0CB0028 00024F21
	v_add_u32_e32 v33, 64, v33                                 // 0000000113A4: 684242C0
	s_nop 0                                                    // 0000000113A8: BF800000
	v_cndmask_b32_e64 v118, v55, v118, s[40:41]                // 0000000113AC: D1000076 00A2ED37
	v_cmp_le_u32_e64 s[40:41], v34, v39                        // 0000000113B4: D0CB0028 00024F22
	v_add_u32_e32 v34, 64, v34                                 // 0000000113BC: 684444C0
	s_nop 0                                                    // 0000000113C0: BF800000
	v_cndmask_b32_e64 v119, v55, v119, s[40:41]                // 0000000113C4: D1000077 00A2EF37
	v_cmp_le_u32_e64 s[40:41], v31, v39                        // 0000000113CC: D0CB0028 00024F1F
	v_add_u32_e32 v31, 64, v31                                 // 0000000113D4: 683E3EC0
	s_nop 0                                                    // 0000000113D8: BF800000
	v_cndmask_b32_e64 v120, v55, v120, s[40:41]                // 0000000113DC: D1000078 00A2F137
	v_cmp_le_u32_e64 s[40:41], v32, v39                        // 0000000113E4: D0CB0028 00024F20
	v_add_u32_e32 v32, 64, v32                                 // 0000000113EC: 684040C0
	s_nop 0                                                    // 0000000113F0: BF800000
	v_cndmask_b32_e64 v121, v55, v121, s[40:41]                // 0000000113F4: D1000079 00A2F337
	v_cmp_le_u32_e64 s[40:41], v33, v39                        // 0000000113FC: D0CB0028 00024F21
	v_add_u32_e32 v33, 64, v33                                 // 000000011404: 684242C0
	s_nop 0                                                    // 000000011408: BF800000
	v_cndmask_b32_e64 v122, v55, v122, s[40:41]                // 00000001140C: D100007A 00A2F537
	v_cmp_le_u32_e64 s[40:41], v34, v39                        // 000000011414: D0CB0028 00024F22
	v_add_u32_e32 v34, 64, v34                                 // 00000001141C: 684444C0
	s_nop 0                                                    // 000000011420: BF800000
	v_cndmask_b32_e64 v123, v55, v123, s[40:41]                // 000000011424: D100007B 00A2F737
	v_cmp_le_u32_e64 s[40:41], v31, v39                        // 00000001142C: D0CB0028 00024F1F
	v_add_u32_e32 v31, 64, v31                                 // 000000011434: 683E3EC0
	s_nop 0                                                    // 000000011438: BF800000
	v_cndmask_b32_e64 v124, v55, v124, s[40:41]                // 00000001143C: D100007C 00A2F937
	v_cmp_le_u32_e64 s[40:41], v32, v39                        // 000000011444: D0CB0028 00024F20
	v_add_u32_e32 v32, 64, v32                                 // 00000001144C: 684040C0
	s_nop 0                                                    // 000000011450: BF800000
	v_cndmask_b32_e64 v125, v55, v125, s[40:41]                // 000000011454: D100007D 00A2FB37
	v_cmp_le_u32_e64 s[40:41], v33, v39                        // 00000001145C: D0CB0028 00024F21
	v_add_u32_e32 v33, 64, v33                                 // 000000011464: 684242C0
	s_nop 0                                                    // 000000011468: BF800000
	v_cndmask_b32_e64 v126, v55, v126, s[40:41]                // 00000001146C: D100007E 00A2FD37
	v_cmp_le_u32_e64 s[40:41], v34, v39                        // 000000011474: D0CB0028 00024F22
	v_add_u32_e32 v34, 64, v34                                 // 00000001147C: 684444C0
	s_nop 0                                                    // 000000011480: BF800000
	v_cndmask_b32_e64 v127, v55, v127, s[40:41]                // 000000011484: D100007F 00A2FF37

000000000001148c <label_3CA4>:
	s_cmp_le_i32 s90, s89                                      // 00000001148C: BF05595A
	s_cbranch_scc1 label_3D19                                  // 000000011490: BF850073
	v_mov_b32_e32 v55, 0xff800000                              // 000000011494: 7E6E02FF FF800000
	s_mov_b32 s60, s90                                         // 00000001149C: BEBC005A
	s_add_u32 s61, s89, 0xff                                   // 0000000114A0: 803DFF59 000000FF
	v_mov_b32_e32 v39, s61                                     // 0000000114A8: 7E4E023D
	v_lshrrev_b32_e32 v31, 4, v0                               // 0000000114AC: 203E0084
	v_mul_i32_i24_e32 v31, 4, v31                              // 0000000114B0: 0C3E3E84
	v_add_u32_e32 v31, s60, v31                                // 0000000114B4: 683E3E3C
	v_and_b32_e32 v40, 15, v0                                  // 0000000114B8: 2650008F
	v_lshrrev_b32_e32 v40, 3, v40                              // 0000000114BC: 20505083
	s_mov_b32 s61, 2                                           // 0000000114C0: BEBD0082
	s_mul_i32 s60, 16, s7                                      // 0000000114C4: 923C0790
	v_add_u32_e32 v40, s61, v40                                // 0000000114C8: 6850503D
	v_sub_u32_e32 v31, v31, v40                                // 0000000114CC: 6A3E511F
	v_add_u32_e32 v31, s60, v31                                // 0000000114D0: 683E3E3C
	v_add_u32_e32 v32, 1, v31                                  // 0000000114D4: 68403E81
	v_add_u32_e32 v33, 2, v31                                  // 0000000114D8: 68423E82
	v_add_u32_e32 v34, 3, v31                                  // 0000000114DC: 68443E83
	v_cmp_le_u32_e64 s[40:41], v31, v39                        // 0000000114E0: D0CB0028 00024F1F
	v_add_u32_e32 v31, 64, v31                                 // 0000000114E8: 683E3EC0
	s_nop 0                                                    // 0000000114EC: BF800000
	v_cndmask_b32_e64 v144, v55, v144, s[40:41]                // 0000000114F0: D1000090 00A32137
	v_cmp_le_u32_e64 s[40:41], v32, v39                        // 0000000114F8: D0CB0028 00024F20
	v_add_u32_e32 v32, 64, v32                                 // 000000011500: 684040C0
	s_nop 0                                                    // 000000011504: BF800000
	v_cndmask_b32_e64 v145, v55, v145, s[40:41]                // 000000011508: D1000091 00A32337
	v_cmp_le_u32_e64 s[40:41], v33, v39                        // 000000011510: D0CB0028 00024F21
	v_add_u32_e32 v33, 64, v33                                 // 000000011518: 684242C0
	s_nop 0                                                    // 00000001151C: BF800000
	v_cndmask_b32_e64 v146, v55, v146, s[40:41]                // 000000011520: D1000092 00A32537
	v_cmp_le_u32_e64 s[40:41], v34, v39                        // 000000011528: D0CB0028 00024F22
	v_add_u32_e32 v34, 64, v34                                 // 000000011530: 684444C0
	s_nop 0                                                    // 000000011534: BF800000
	v_cndmask_b32_e64 v147, v55, v147, s[40:41]                // 000000011538: D1000093 00A32737
	v_cmp_le_u32_e64 s[40:41], v31, v39                        // 000000011540: D0CB0028 00024F1F
	v_add_u32_e32 v31, 64, v31                                 // 000000011548: 683E3EC0
	s_nop 0                                                    // 00000001154C: BF800000
	v_cndmask_b32_e64 v148, v55, v148, s[40:41]                // 000000011550: D1000094 00A32937
	v_cmp_le_u32_e64 s[40:41], v32, v39                        // 000000011558: D0CB0028 00024F20
	v_add_u32_e32 v32, 64, v32                                 // 000000011560: 684040C0
	s_nop 0                                                    // 000000011564: BF800000
	v_cndmask_b32_e64 v149, v55, v149, s[40:41]                // 000000011568: D1000095 00A32B37
	v_cmp_le_u32_e64 s[40:41], v33, v39                        // 000000011570: D0CB0028 00024F21
	v_add_u32_e32 v33, 64, v33                                 // 000000011578: 684242C0
	s_nop 0                                                    // 00000001157C: BF800000
	v_cndmask_b32_e64 v150, v55, v150, s[40:41]                // 000000011580: D1000096 00A32D37
	v_cmp_le_u32_e64 s[40:41], v34, v39                        // 000000011588: D0CB0028 00024F22
	v_add_u32_e32 v34, 64, v34                                 // 000000011590: 684444C0
	s_nop 0                                                    // 000000011594: BF800000
	v_cndmask_b32_e64 v151, v55, v151, s[40:41]                // 000000011598: D1000097 00A32F37
	v_cmp_le_u32_e64 s[40:41], v31, v39                        // 0000000115A0: D0CB0028 00024F1F
	v_add_u32_e32 v31, 64, v31                                 // 0000000115A8: 683E3EC0
	s_nop 0                                                    // 0000000115AC: BF800000
	v_cndmask_b32_e64 v152, v55, v152, s[40:41]                // 0000000115B0: D1000098 00A33137
	v_cmp_le_u32_e64 s[40:41], v32, v39                        // 0000000115B8: D0CB0028 00024F20
	v_add_u32_e32 v32, 64, v32                                 // 0000000115C0: 684040C0
	s_nop 0                                                    // 0000000115C4: BF800000
	v_cndmask_b32_e64 v153, v55, v153, s[40:41]                // 0000000115C8: D1000099 00A33337
	v_cmp_le_u32_e64 s[40:41], v33, v39                        // 0000000115D0: D0CB0028 00024F21
	v_add_u32_e32 v33, 64, v33                                 // 0000000115D8: 684242C0
	s_nop 0                                                    // 0000000115DC: BF800000
	v_cndmask_b32_e64 v154, v55, v154, s[40:41]                // 0000000115E0: D100009A 00A33537
	v_cmp_le_u32_e64 s[40:41], v34, v39                        // 0000000115E8: D0CB0028 00024F22
	v_add_u32_e32 v34, 64, v34                                 // 0000000115F0: 684444C0
	s_nop 0                                                    // 0000000115F4: BF800000
	v_cndmask_b32_e64 v155, v55, v155, s[40:41]                // 0000000115F8: D100009B 00A33737
	v_cmp_le_u32_e64 s[40:41], v31, v39                        // 000000011600: D0CB0028 00024F1F
	v_add_u32_e32 v31, 64, v31                                 // 000000011608: 683E3EC0
	s_nop 0                                                    // 00000001160C: BF800000
	v_cndmask_b32_e64 v156, v55, v156, s[40:41]                // 000000011610: D100009C 00A33937
	v_cmp_le_u32_e64 s[40:41], v32, v39                        // 000000011618: D0CB0028 00024F20
	v_add_u32_e32 v32, 64, v32                                 // 000000011620: 684040C0
	s_nop 0                                                    // 000000011624: BF800000
	v_cndmask_b32_e64 v157, v55, v157, s[40:41]                // 000000011628: D100009D 00A33B37
	v_cmp_le_u32_e64 s[40:41], v33, v39                        // 000000011630: D0CB0028 00024F21
	v_add_u32_e32 v33, 64, v33                                 // 000000011638: 684242C0
	s_nop 0                                                    // 00000001163C: BF800000
	v_cndmask_b32_e64 v158, v55, v158, s[40:41]                // 000000011640: D100009E 00A33D37
	v_cmp_le_u32_e64 s[40:41], v34, v39                        // 000000011648: D0CB0028 00024F22
	v_add_u32_e32 v34, 64, v34                                 // 000000011650: 684444C0
	s_nop 0                                                    // 000000011654: BF800000
	v_cndmask_b32_e64 v159, v55, v159, s[40:41]                // 000000011658: D100009F 00A33F37

0000000000011660 <label_3D19>:
	s_nop 8                                                    // 000000011660: BF800008
	s_and_b32 s60, s72, 0xff                                   // 000000011664: 863CFF48 000000FF
	v_mov_b32_e32 v56, s60                                     // 00000001166C: 7E70023C
	v_lshrrev_b32_e32 v31, 4, v0                               // 000000011670: 203E0084
	v_mul_i32_i24_e32 v31, 4, v31                              // 000000011674: 0C3E3E84
	s_mul_i32 s60, s7, 16                                      // 000000011678: 923C9007
	v_add_u32_e32 v31, s60, v31                                // 00000001167C: 683E3E3C
	v_add_u32_e32 v32, 1, v31                                  // 000000011680: 68403E81
	v_add_u32_e32 v33, 2, v31                                  // 000000011684: 68423E82
	v_add_u32_e32 v34, 3, v31                                  // 000000011688: 68443E83
	v_mov_b32_e32 v39, v55                                     // 00000001168C: 7E4E0337
	v_cmp_lt_u32_e64 s[40:41], v31, v56                        // 000000011690: D0C90028 0002711F
	v_add_u32_e32 v31, 64, v31                                 // 000000011698: 683E3EC0
	s_nop 0                                                    // 00000001169C: BF800000
	v_cndmask_b32_e64 v112, v39, v112, s[40:41]                // 0000000116A0: D1000070 00A2E127
	v_cmp_lt_u32_e64 s[40:41], v32, v56                        // 0000000116A8: D0C90028 00027120
	v_add_u32_e32 v32, 64, v32                                 // 0000000116B0: 684040C0
	s_nop 0                                                    // 0000000116B4: BF800000
	v_cndmask_b32_e64 v113, v39, v113, s[40:41]                // 0000000116B8: D1000071 00A2E327
	v_cmp_lt_u32_e64 s[40:41], v33, v56                        // 0000000116C0: D0C90028 00027121
	v_add_u32_e32 v33, 64, v33                                 // 0000000116C8: 684242C0
	s_nop 0                                                    // 0000000116CC: BF800000
	v_cndmask_b32_e64 v114, v39, v114, s[40:41]                // 0000000116D0: D1000072 00A2E527
	v_cmp_lt_u32_e64 s[40:41], v34, v56                        // 0000000116D8: D0C90028 00027122
	v_add_u32_e32 v34, 64, v34                                 // 0000000116E0: 684444C0
	s_nop 0                                                    // 0000000116E4: BF800000
	v_cndmask_b32_e64 v115, v39, v115, s[40:41]                // 0000000116E8: D1000073 00A2E727
	v_cmp_lt_u32_e64 s[40:41], v31, v56                        // 0000000116F0: D0C90028 0002711F
	v_add_u32_e32 v31, 64, v31                                 // 0000000116F8: 683E3EC0
	s_nop 0                                                    // 0000000116FC: BF800000
	v_cndmask_b32_e64 v116, v39, v116, s[40:41]                // 000000011700: D1000074 00A2E927
	v_cmp_lt_u32_e64 s[40:41], v32, v56                        // 000000011708: D0C90028 00027120
	v_add_u32_e32 v32, 64, v32                                 // 000000011710: 684040C0
	s_nop 0                                                    // 000000011714: BF800000
	v_cndmask_b32_e64 v117, v39, v117, s[40:41]                // 000000011718: D1000075 00A2EB27
	v_cmp_lt_u32_e64 s[40:41], v33, v56                        // 000000011720: D0C90028 00027121
	v_add_u32_e32 v33, 64, v33                                 // 000000011728: 684242C0
	s_nop 0                                                    // 00000001172C: BF800000
	v_cndmask_b32_e64 v118, v39, v118, s[40:41]                // 000000011730: D1000076 00A2ED27
	v_cmp_lt_u32_e64 s[40:41], v34, v56                        // 000000011738: D0C90028 00027122
	v_add_u32_e32 v34, 64, v34                                 // 000000011740: 684444C0
	s_nop 0                                                    // 000000011744: BF800000
	v_cndmask_b32_e64 v119, v39, v119, s[40:41]                // 000000011748: D1000077 00A2EF27
	v_cmp_lt_u32_e64 s[40:41], v31, v56                        // 000000011750: D0C90028 0002711F
	v_add_u32_e32 v31, 64, v31                                 // 000000011758: 683E3EC0
	s_nop 0                                                    // 00000001175C: BF800000
	v_cndmask_b32_e64 v120, v39, v120, s[40:41]                // 000000011760: D1000078 00A2F127
	v_cmp_lt_u32_e64 s[40:41], v32, v56                        // 000000011768: D0C90028 00027120
	v_add_u32_e32 v32, 64, v32                                 // 000000011770: 684040C0
	s_nop 0                                                    // 000000011774: BF800000
	v_cndmask_b32_e64 v121, v39, v121, s[40:41]                // 000000011778: D1000079 00A2F327
	v_cmp_lt_u32_e64 s[40:41], v33, v56                        // 000000011780: D0C90028 00027121
	v_add_u32_e32 v33, 64, v33                                 // 000000011788: 684242C0
	s_nop 0                                                    // 00000001178C: BF800000
	v_cndmask_b32_e64 v122, v39, v122, s[40:41]                // 000000011790: D100007A 00A2F527
	v_cmp_lt_u32_e64 s[40:41], v34, v56                        // 000000011798: D0C90028 00027122
	v_add_u32_e32 v34, 64, v34                                 // 0000000117A0: 684444C0
	s_nop 0                                                    // 0000000117A4: BF800000
	v_cndmask_b32_e64 v123, v39, v123, s[40:41]                // 0000000117A8: D100007B 00A2F727
	v_cmp_lt_u32_e64 s[40:41], v31, v56                        // 0000000117B0: D0C90028 0002711F
	v_add_u32_e32 v31, 64, v31                                 // 0000000117B8: 683E3EC0
	s_nop 0                                                    // 0000000117BC: BF800000
	v_cndmask_b32_e64 v124, v39, v124, s[40:41]                // 0000000117C0: D100007C 00A2F927
	v_cmp_lt_u32_e64 s[40:41], v32, v56                        // 0000000117C8: D0C90028 00027120
	v_add_u32_e32 v32, 64, v32                                 // 0000000117D0: 684040C0
	s_nop 0                                                    // 0000000117D4: BF800000
	v_cndmask_b32_e64 v125, v39, v125, s[40:41]                // 0000000117D8: D100007D 00A2FB27
	v_cmp_lt_u32_e64 s[40:41], v33, v56                        // 0000000117E0: D0C90028 00027121
	v_add_u32_e32 v33, 64, v33                                 // 0000000117E8: 684242C0
	s_nop 0                                                    // 0000000117EC: BF800000
	v_cndmask_b32_e64 v126, v39, v126, s[40:41]                // 0000000117F0: D100007E 00A2FD27
	v_cmp_lt_u32_e64 s[40:41], v34, v56                        // 0000000117F8: D0C90028 00027122
	v_add_u32_e32 v34, 64, v34                                 // 000000011800: 684444C0
	s_nop 0                                                    // 000000011804: BF800000
	v_cndmask_b32_e64 v127, v39, v127, s[40:41]                // 000000011808: D100007F 00A2FF27
	s_and_b32 s60, s72, 0xff                                   // 000000011810: 863CFF48 000000FF
	v_mov_b32_e32 v56, s60                                     // 000000011818: 7E70023C
	v_lshrrev_b32_e32 v31, 4, v0                               // 00000001181C: 203E0084
	v_mul_i32_i24_e32 v31, 4, v31                              // 000000011820: 0C3E3E84
	s_mul_i32 s60, s7, 16                                      // 000000011824: 923C9007
	v_add_u32_e32 v31, s60, v31                                // 000000011828: 683E3E3C
	v_add_u32_e32 v32, 1, v31                                  // 00000001182C: 68403E81
	v_add_u32_e32 v33, 2, v31                                  // 000000011830: 68423E82
	v_add_u32_e32 v34, 3, v31                                  // 000000011834: 68443E83
	v_mov_b32_e32 v39, v55                                     // 000000011838: 7E4E0337
	v_cmp_lt_u32_e64 s[40:41], v31, v56                        // 00000001183C: D0C90028 0002711F
	v_add_u32_e32 v31, 64, v31                                 // 000000011844: 683E3EC0
	s_nop 0                                                    // 000000011848: BF800000
	v_cndmask_b32_e64 v144, v39, v144, s[40:41]                // 00000001184C: D1000090 00A32127
	v_cmp_lt_u32_e64 s[40:41], v32, v56                        // 000000011854: D0C90028 00027120
	v_add_u32_e32 v32, 64, v32                                 // 00000001185C: 684040C0
	s_nop 0                                                    // 000000011860: BF800000
	v_cndmask_b32_e64 v145, v39, v145, s[40:41]                // 000000011864: D1000091 00A32327
	v_cmp_lt_u32_e64 s[40:41], v33, v56                        // 00000001186C: D0C90028 00027121
	v_add_u32_e32 v33, 64, v33                                 // 000000011874: 684242C0
	s_nop 0                                                    // 000000011878: BF800000
	v_cndmask_b32_e64 v146, v39, v146, s[40:41]                // 00000001187C: D1000092 00A32527
	v_cmp_lt_u32_e64 s[40:41], v34, v56                        // 000000011884: D0C90028 00027122
	v_add_u32_e32 v34, 64, v34                                 // 00000001188C: 684444C0
	s_nop 0                                                    // 000000011890: BF800000
	v_cndmask_b32_e64 v147, v39, v147, s[40:41]                // 000000011894: D1000093 00A32727
	v_cmp_lt_u32_e64 s[40:41], v31, v56                        // 00000001189C: D0C90028 0002711F
	v_add_u32_e32 v31, 64, v31                                 // 0000000118A4: 683E3EC0
	s_nop 0                                                    // 0000000118A8: BF800000
	v_cndmask_b32_e64 v148, v39, v148, s[40:41]                // 0000000118AC: D1000094 00A32927
	v_cmp_lt_u32_e64 s[40:41], v32, v56                        // 0000000118B4: D0C90028 00027120
	v_add_u32_e32 v32, 64, v32                                 // 0000000118BC: 684040C0
	s_nop 0                                                    // 0000000118C0: BF800000
	v_cndmask_b32_e64 v149, v39, v149, s[40:41]                // 0000000118C4: D1000095 00A32B27
	v_cmp_lt_u32_e64 s[40:41], v33, v56                        // 0000000118CC: D0C90028 00027121
	v_add_u32_e32 v33, 64, v33                                 // 0000000118D4: 684242C0
	s_nop 0                                                    // 0000000118D8: BF800000
	v_cndmask_b32_e64 v150, v39, v150, s[40:41]                // 0000000118DC: D1000096 00A32D27
	v_cmp_lt_u32_e64 s[40:41], v34, v56                        // 0000000118E4: D0C90028 00027122
	v_add_u32_e32 v34, 64, v34                                 // 0000000118EC: 684444C0
	s_nop 0                                                    // 0000000118F0: BF800000
	v_cndmask_b32_e64 v151, v39, v151, s[40:41]                // 0000000118F4: D1000097 00A32F27
	v_cmp_lt_u32_e64 s[40:41], v31, v56                        // 0000000118FC: D0C90028 0002711F
	v_add_u32_e32 v31, 64, v31                                 // 000000011904: 683E3EC0
	s_nop 0                                                    // 000000011908: BF800000
	v_cndmask_b32_e64 v152, v39, v152, s[40:41]                // 00000001190C: D1000098 00A33127
	v_cmp_lt_u32_e64 s[40:41], v32, v56                        // 000000011914: D0C90028 00027120
	v_add_u32_e32 v32, 64, v32                                 // 00000001191C: 684040C0
	s_nop 0                                                    // 000000011920: BF800000
	v_cndmask_b32_e64 v153, v39, v153, s[40:41]                // 000000011924: D1000099 00A33327
	v_cmp_lt_u32_e64 s[40:41], v33, v56                        // 00000001192C: D0C90028 00027121
	v_add_u32_e32 v33, 64, v33                                 // 000000011934: 684242C0
	s_nop 0                                                    // 000000011938: BF800000
	v_cndmask_b32_e64 v154, v39, v154, s[40:41]                // 00000001193C: D100009A 00A33527
	v_cmp_lt_u32_e64 s[40:41], v34, v56                        // 000000011944: D0C90028 00027122
	v_add_u32_e32 v34, 64, v34                                 // 00000001194C: 684444C0
	s_nop 0                                                    // 000000011950: BF800000
	v_cndmask_b32_e64 v155, v39, v155, s[40:41]                // 000000011954: D100009B 00A33727
	v_cmp_lt_u32_e64 s[40:41], v31, v56                        // 00000001195C: D0C90028 0002711F
	v_add_u32_e32 v31, 64, v31                                 // 000000011964: 683E3EC0
	s_nop 0                                                    // 000000011968: BF800000
	v_cndmask_b32_e64 v156, v39, v156, s[40:41]                // 00000001196C: D100009C 00A33927
	v_cmp_lt_u32_e64 s[40:41], v32, v56                        // 000000011974: D0C90028 00027120
	v_add_u32_e32 v32, 64, v32                                 // 00000001197C: 684040C0
	s_nop 0                                                    // 000000011980: BF800000
	v_cndmask_b32_e64 v157, v39, v157, s[40:41]                // 000000011984: D100009D 00A33B27
	v_cmp_lt_u32_e64 s[40:41], v33, v56                        // 00000001198C: D0C90028 00027121
	v_add_u32_e32 v33, 64, v33                                 // 000000011994: 684242C0
	s_nop 0                                                    // 000000011998: BF800000
	v_cndmask_b32_e64 v158, v39, v158, s[40:41]                // 00000001199C: D100009E 00A33D27
	v_cmp_lt_u32_e64 s[40:41], v34, v56                        // 0000000119A4: D0C90028 00027122
	v_add_u32_e32 v34, 64, v34                                 // 0000000119AC: 684444C0
	s_nop 0                                                    // 0000000119B0: BF800000
	v_cndmask_b32_e64 v159, v39, v159, s[40:41]                // 0000000119B4: D100009F 00A33F27
	s_nop 8                                                    // 0000000119BC: BF800008
	v_mov_b32_e32 v50, v112                                    // 0000000119C0: 7E640370
	v_max3_f32 v50, v112, v113, v50                            // 0000000119C4: D1D30032 04CAE370
	v_max3_f32 v50, v114, v115, v50                            // 0000000119CC: D1D30032 04CAE772
	v_max3_f32 v50, v116, v117, v50                            // 0000000119D4: D1D30032 04CAEB74
	v_max3_f32 v50, v118, v119, v50                            // 0000000119DC: D1D30032 04CAEF76
	v_max3_f32 v50, v120, v121, v50                            // 0000000119E4: D1D30032 04CAF378
	v_max3_f32 v50, v122, v123, v50                            // 0000000119EC: D1D30032 04CAF77A
	v_max3_f32 v50, v124, v125, v50                            // 0000000119F4: D1D30032 04CAFB7C
	v_max3_f32 v50, v126, v127, v50                            // 0000000119FC: D1D30032 04CAFF7E
	ds_write_b32 v11, v50                                      // 000000011A04: D81A0000 0000320B
	s_waitcnt lgkmcnt(0)                                       // 000000011A0C: BF8CC07F
	s_barrier                                                  // 000000011A10: BF8A0000
	ds_read_b32 v64, v10                                       // 000000011A14: D86C0000 4000000A
	ds_read_b32 v65, v10 offset:64                             // 000000011A1C: D86C0040 4100000A
	ds_read_b32 v66, v10 offset:128                            // 000000011A24: D86C0080 4200000A
	ds_read_b32 v67, v10 offset:192                            // 000000011A2C: D86C00C0 4300000A
	ds_read_b32 v68, v10 offset:256                            // 000000011A34: D86C0100 4400000A
	ds_read_b32 v69, v10 offset:320                            // 000000011A3C: D86C0140 4500000A
	ds_read_b32 v70, v10 offset:384                            // 000000011A44: D86C0180 4600000A
	ds_read_b32 v71, v10 offset:448                            // 000000011A4C: D86C01C0 4700000A
	ds_read_b32 v72, v10 offset:512                            // 000000011A54: D86C0200 4800000A
	ds_read_b32 v73, v10 offset:576                            // 000000011A5C: D86C0240 4900000A
	ds_read_b32 v74, v10 offset:640                            // 000000011A64: D86C0280 4A00000A
	ds_read_b32 v75, v10 offset:704                            // 000000011A6C: D86C02C0 4B00000A
	ds_read_b32 v76, v10 offset:768                            // 000000011A74: D86C0300 4C00000A
	ds_read_b32 v77, v10 offset:832                            // 000000011A7C: D86C0340 4D00000A
	ds_read_b32 v78, v10 offset:896                            // 000000011A84: D86C0380 4E00000A
	ds_read_b32 v79, v10 offset:960                            // 000000011A8C: D86C03C0 4F00000A
	s_waitcnt lgkmcnt(0)                                       // 000000011A94: BF8CC07F
	v_max3_f32 v50, v64, v65, v50                              // 000000011A98: D1D30032 04CA8340
	v_max3_f32 v50, v66, v67, v50                              // 000000011AA0: D1D30032 04CA8742
	v_max3_f32 v50, v68, v69, v50                              // 000000011AA8: D1D30032 04CA8B44
	v_max3_f32 v50, v70, v71, v50                              // 000000011AB0: D1D30032 04CA8F46
	v_max3_f32 v50, v72, v73, v50                              // 000000011AB8: D1D30032 04CA9348
	v_max3_f32 v50, v74, v75, v50                              // 000000011AC0: D1D30032 04CA974A
	v_max3_f32 v50, v76, v77, v50                              // 000000011AC8: D1D30032 04CA9B4C
	v_max3_f32 v50, v78, v79, v50                              // 000000011AD0: D1D30032 04CA9F4E
	v_cmp_eq_u32_e64 s[40:41], v55, v14                        // 000000011AD8: D0CA0028 00021D37
	s_nop 1                                                    // 000000011AE0: BF800001
	v_max_f32_e32 v16, v50, v14                                // 000000011AE4: 16201D32
	v_sub_f32_e32 v51, v14, v16                                // 000000011AE8: 0466210E
	v_cndmask_b32_e64 v51, v51, 0, s[40:41]                    // 000000011AEC: D1000033 00A10133
	v_mov_b32_e32 v14, v16                                     // 000000011AF4: 7E1C0310
	v_mul_f32_e32 v53, s64, v16                                // 000000011AF8: 0A6A2040
	v_mul_f32_e32 v51, s64, v51                                // 000000011AFC: 0A666640
	v_exp_f32_e32 v51, v51                                     // 000000011B00: 7E664133
	v_fma_f32 v112, v112, s64, -v53                            // 000000011B04: D1CB0070 84D48170
	v_fma_f32 v113, v113, s64, -v53                            // 000000011B0C: D1CB0071 84D48171
	v_fma_f32 v114, v114, s64, -v53                            // 000000011B14: D1CB0072 84D48172
	v_fma_f32 v115, v115, s64, -v53                            // 000000011B1C: D1CB0073 84D48173
	v_fma_f32 v116, v116, s64, -v53                            // 000000011B24: D1CB0074 84D48174
	v_fma_f32 v117, v117, s64, -v53                            // 000000011B2C: D1CB0075 84D48175
	v_fma_f32 v118, v118, s64, -v53                            // 000000011B34: D1CB0076 84D48176
	v_fma_f32 v119, v119, s64, -v53                            // 000000011B3C: D1CB0077 84D48177
	v_fma_f32 v120, v120, s64, -v53                            // 000000011B44: D1CB0078 84D48178
	v_fma_f32 v121, v121, s64, -v53                            // 000000011B4C: D1CB0079 84D48179
	v_fma_f32 v122, v122, s64, -v53                            // 000000011B54: D1CB007A 84D4817A
	v_fma_f32 v123, v123, s64, -v53                            // 000000011B5C: D1CB007B 84D4817B
	v_fma_f32 v124, v124, s64, -v53                            // 000000011B64: D1CB007C 84D4817C
	v_fma_f32 v125, v125, s64, -v53                            // 000000011B6C: D1CB007D 84D4817D
	v_fma_f32 v126, v126, s64, -v53                            // 000000011B74: D1CB007E 84D4817E
	v_fma_f32 v127, v127, s64, -v53                            // 000000011B7C: D1CB007F 84D4817F
	v_exp_f32_e32 v112, v112                                   // 000000011B84: 7EE04170
	v_exp_f32_e32 v113, v113                                   // 000000011B88: 7EE24171
	v_exp_f32_e32 v114, v114                                   // 000000011B8C: 7EE44172
	v_exp_f32_e32 v115, v115                                   // 000000011B90: 7EE64173
	v_exp_f32_e32 v116, v116                                   // 000000011B94: 7EE84174
	v_exp_f32_e32 v117, v117                                   // 000000011B98: 7EEA4175
	v_exp_f32_e32 v118, v118                                   // 000000011B9C: 7EEC4176
	v_exp_f32_e32 v119, v119                                   // 000000011BA0: 7EEE4177
	v_exp_f32_e32 v120, v120                                   // 000000011BA4: 7EF04178
	v_exp_f32_e32 v121, v121                                   // 000000011BA8: 7EF24179
	v_exp_f32_e32 v122, v122                                   // 000000011BAC: 7EF4417A
	v_exp_f32_e32 v123, v123                                   // 000000011BB0: 7EF6417B
	v_exp_f32_e32 v124, v124                                   // 000000011BB4: 7EF8417C
	v_exp_f32_e32 v125, v125                                   // 000000011BB8: 7EFA417D
	v_exp_f32_e32 v126, v126                                   // 000000011BBC: 7EFC417E
	v_exp_f32_e32 v127, v127                                   // 000000011BC0: 7EFE417F
	v_mul_f32_e32 v43, v51, v43                                // 000000011BC4: 0A565733
	v_mov_b32_e32 v45, v112                                    // 000000011BC8: 7E5A0370
	v_add_f32_e32 v45, v113, v45                               // 000000011BCC: 025A5B71
	v_add_f32_e32 v45, v114, v45                               // 000000011BD0: 025A5B72
	v_add_f32_e32 v45, v115, v45                               // 000000011BD4: 025A5B73
	v_add_f32_e32 v45, v116, v45                               // 000000011BD8: 025A5B74
	v_add_f32_e32 v45, v117, v45                               // 000000011BDC: 025A5B75
	v_add_f32_e32 v45, v118, v45                               // 000000011BE0: 025A5B76
	v_add_f32_e32 v45, v119, v45                               // 000000011BE4: 025A5B77
	v_add_f32_e32 v45, v120, v45                               // 000000011BE8: 025A5B78
	v_add_f32_e32 v45, v121, v45                               // 000000011BEC: 025A5B79
	v_add_f32_e32 v45, v122, v45                               // 000000011BF0: 025A5B7A
	v_add_f32_e32 v45, v123, v45                               // 000000011BF4: 025A5B7B
	v_add_f32_e32 v45, v124, v45                               // 000000011BF8: 025A5B7C
	v_add_f32_e32 v45, v125, v45                               // 000000011BFC: 025A5B7D
	v_add_f32_e32 v45, v126, v45                               // 000000011C00: 025A5B7E
	v_add_f32_e32 v45, v127, v45                               // 000000011C04: 025A5B7F
	v_add_f32_e32 v43, v45, v43                                // 000000011C08: 0256572D
	v_cmp_u_f32_e64 s[40:41], v112, v112                       // 000000011C0C: D0480028 0002E170
	v_add3_u32 v19, v112, v22, 1                               // 000000011C14: D1FF0013 02062D70
	v_cndmask_b32_e64 v39, v19, v21, s[40:41]                  // 000000011C1C: D1000027 00A22B13
	v_cmp_u_f32_e64 s[40:41], v113, v113                       // 000000011C24: D0480028 0002E371
	v_add3_u32 v19, v113, v22, 1                               // 000000011C2C: D1FF0013 02062D71
	v_cndmask_b32_e64 v40, v19, v21, s[40:41]                  // 000000011C34: D1000028 00A22B13
	v_perm_b32 v112, v40, v39, s52                             // 000000011C3C: D1ED0070 00D24F28
	v_cmp_u_f32_e64 s[40:41], v114, v114                       // 000000011C44: D0480028 0002E572
	v_add3_u32 v19, v114, v22, 1                               // 000000011C4C: D1FF0013 02062D72
	v_cndmask_b32_e64 v39, v19, v21, s[40:41]                  // 000000011C54: D1000027 00A22B13
	v_cmp_u_f32_e64 s[40:41], v115, v115                       // 000000011C5C: D0480028 0002E773
	v_add3_u32 v19, v115, v22, 1                               // 000000011C64: D1FF0013 02062D73
	v_cndmask_b32_e64 v40, v19, v21, s[40:41]                  // 000000011C6C: D1000028 00A22B13
	v_perm_b32 v113, v40, v39, s52                             // 000000011C74: D1ED0071 00D24F28
	v_cmp_u_f32_e64 s[40:41], v116, v116                       // 000000011C7C: D0480028 0002E974
	v_add3_u32 v19, v116, v22, 1                               // 000000011C84: D1FF0013 02062D74
	v_cndmask_b32_e64 v39, v19, v21, s[40:41]                  // 000000011C8C: D1000027 00A22B13
	v_cmp_u_f32_e64 s[40:41], v117, v117                       // 000000011C94: D0480028 0002EB75
	v_add3_u32 v19, v117, v22, 1                               // 000000011C9C: D1FF0013 02062D75
	v_cndmask_b32_e64 v40, v19, v21, s[40:41]                  // 000000011CA4: D1000028 00A22B13
	v_perm_b32 v114, v40, v39, s52                             // 000000011CAC: D1ED0072 00D24F28
	v_cmp_u_f32_e64 s[40:41], v118, v118                       // 000000011CB4: D0480028 0002ED76
	v_add3_u32 v19, v118, v22, 1                               // 000000011CBC: D1FF0013 02062D76
	v_cndmask_b32_e64 v39, v19, v21, s[40:41]                  // 000000011CC4: D1000027 00A22B13
	v_cmp_u_f32_e64 s[40:41], v119, v119                       // 000000011CCC: D0480028 0002EF77
	v_add3_u32 v19, v119, v22, 1                               // 000000011CD4: D1FF0013 02062D77
	v_cndmask_b32_e64 v40, v19, v21, s[40:41]                  // 000000011CDC: D1000028 00A22B13
	v_perm_b32 v115, v40, v39, s52                             // 000000011CE4: D1ED0073 00D24F28
	v_cmp_u_f32_e64 s[40:41], v120, v120                       // 000000011CEC: D0480028 0002F178
	v_add3_u32 v19, v120, v22, 1                               // 000000011CF4: D1FF0013 02062D78
	v_cndmask_b32_e64 v39, v19, v21, s[40:41]                  // 000000011CFC: D1000027 00A22B13
	v_cmp_u_f32_e64 s[40:41], v121, v121                       // 000000011D04: D0480028 0002F379
	v_add3_u32 v19, v121, v22, 1                               // 000000011D0C: D1FF0013 02062D79
	v_cndmask_b32_e64 v40, v19, v21, s[40:41]                  // 000000011D14: D1000028 00A22B13
	v_perm_b32 v116, v40, v39, s52                             // 000000011D1C: D1ED0074 00D24F28
	v_cmp_u_f32_e64 s[40:41], v122, v122                       // 000000011D24: D0480028 0002F57A
	v_add3_u32 v19, v122, v22, 1                               // 000000011D2C: D1FF0013 02062D7A
	v_cndmask_b32_e64 v39, v19, v21, s[40:41]                  // 000000011D34: D1000027 00A22B13
	v_cmp_u_f32_e64 s[40:41], v123, v123                       // 000000011D3C: D0480028 0002F77B
	v_add3_u32 v19, v123, v22, 1                               // 000000011D44: D1FF0013 02062D7B
	v_cndmask_b32_e64 v40, v19, v21, s[40:41]                  // 000000011D4C: D1000028 00A22B13
	v_perm_b32 v117, v40, v39, s52                             // 000000011D54: D1ED0075 00D24F28
	v_cmp_u_f32_e64 s[40:41], v124, v124                       // 000000011D5C: D0480028 0002F97C
	v_add3_u32 v19, v124, v22, 1                               // 000000011D64: D1FF0013 02062D7C
	v_cndmask_b32_e64 v39, v19, v21, s[40:41]                  // 000000011D6C: D1000027 00A22B13
	v_cmp_u_f32_e64 s[40:41], v125, v125                       // 000000011D74: D0480028 0002FB7D
	v_add3_u32 v19, v125, v22, 1                               // 000000011D7C: D1FF0013 02062D7D
	v_cndmask_b32_e64 v40, v19, v21, s[40:41]                  // 000000011D84: D1000028 00A22B13
	v_perm_b32 v118, v40, v39, s52                             // 000000011D8C: D1ED0076 00D24F28
	v_cmp_u_f32_e64 s[40:41], v126, v126                       // 000000011D94: D0480028 0002FD7E
	v_add3_u32 v19, v126, v22, 1                               // 000000011D9C: D1FF0013 02062D7E
	v_cndmask_b32_e64 v39, v19, v21, s[40:41]                  // 000000011DA4: D1000027 00A22B13
	v_cmp_u_f32_e64 s[40:41], v127, v127                       // 000000011DAC: D0480028 0002FF7F
	v_add3_u32 v19, v127, v22, 1                               // 000000011DB4: D1FF0013 02062D7F
	v_cndmask_b32_e64 v40, v19, v21, s[40:41]                  // 000000011DBC: D1000028 00A22B13
	v_perm_b32 v119, v40, v39, s52                             // 000000011DC4: D1ED0077 00D24F28
	ds_write_b64 v13, v[112:113] offset:4096                   // 000000011DCC: D89A1000 0000700D
	ds_write_b64 v13, v[114:115] offset:6144                   // 000000011DD4: D89A1800 0000720D
	ds_write_b64 v13, v[116:117] offset:8192                   // 000000011DDC: D89A2000 0000740D
	ds_write_b64 v13, v[118:119] offset:10240                  // 000000011DE4: D89A2800 0000760D
	s_waitcnt lgkmcnt(0)                                       // 000000011DEC: BF8CC07F
	s_barrier                                                  // 000000011DF0: BF8A0000
	ds_read_b64 v[112:113], v12 offset:4096                    // 000000011DF4: D8EC1000 7000000C
	ds_read_b64 v[114:115], v12 offset:4224                    // 000000011DFC: D8EC1080 7200000C
	ds_read_b64 v[116:117], v12 offset:5120                    // 000000011E04: D8EC1400 7400000C
	ds_read_b64 v[118:119], v12 offset:5248                    // 000000011E0C: D8EC1480 7600000C
	ds_read_b64 v[120:121], v12 offset:6144                    // 000000011E14: D8EC1800 7800000C
	ds_read_b64 v[122:123], v12 offset:6272                    // 000000011E1C: D8EC1880 7A00000C
	ds_read_b64 v[124:125], v12 offset:7168                    // 000000011E24: D8EC1C00 7C00000C
	ds_read_b64 v[126:127], v12 offset:7296                    // 000000011E2C: D8EC1C80 7E00000C
	ds_read_b64 v[128:129], v12 offset:8192                    // 000000011E34: D8EC2000 8000000C
	ds_read_b64 v[130:131], v12 offset:8320                    // 000000011E3C: D8EC2080 8200000C
	ds_read_b64 v[132:133], v12 offset:9216                    // 000000011E44: D8EC2400 8400000C
	ds_read_b64 v[134:135], v12 offset:9344                    // 000000011E4C: D8EC2480 8600000C
	ds_read_b64 v[136:137], v12 offset:10240                   // 000000011E54: D8EC2800 8800000C
	ds_read_b64 v[138:139], v12 offset:10368                   // 000000011E5C: D8EC2880 8A00000C
	ds_read_b64 v[140:141], v12 offset:11264                   // 000000011E64: D8EC2C00 8C00000C
	ds_read_b64 v[142:143], v12 offset:11392                   // 000000011E6C: D8EC2C80 8E00000C
	s_waitcnt lgkmcnt(0)                                       // 000000011E74: BF8CC07F
	s_nop 8                                                    // 000000011E78: BF800008
	v_mov_b32_e32 v50, v144                                    // 000000011E7C: 7E640390
	v_max3_f32 v50, v144, v145, v50                            // 000000011E80: D1D30032 04CB2390
	v_max3_f32 v50, v146, v147, v50                            // 000000011E88: D1D30032 04CB2792
	v_max3_f32 v50, v148, v149, v50                            // 000000011E90: D1D30032 04CB2B94
	v_max3_f32 v50, v150, v151, v50                            // 000000011E98: D1D30032 04CB2F96
	v_max3_f32 v50, v152, v153, v50                            // 000000011EA0: D1D30032 04CB3398
	v_max3_f32 v50, v154, v155, v50                            // 000000011EA8: D1D30032 04CB379A
	v_max3_f32 v50, v156, v157, v50                            // 000000011EB0: D1D30032 04CB3B9C
	v_max3_f32 v50, v158, v159, v50                            // 000000011EB8: D1D30032 04CB3F9E
	ds_write_b32 v11, v50                                      // 000000011EC0: D81A0000 0000320B
	s_waitcnt lgkmcnt(0)                                       // 000000011EC8: BF8CC07F
	s_barrier                                                  // 000000011ECC: BF8A0000
	ds_read_b32 v64, v10                                       // 000000011ED0: D86C0000 4000000A
	ds_read_b32 v65, v10 offset:64                             // 000000011ED8: D86C0040 4100000A
	ds_read_b32 v66, v10 offset:128                            // 000000011EE0: D86C0080 4200000A
	ds_read_b32 v67, v10 offset:192                            // 000000011EE8: D86C00C0 4300000A
	ds_read_b32 v68, v10 offset:256                            // 000000011EF0: D86C0100 4400000A
	ds_read_b32 v69, v10 offset:320                            // 000000011EF8: D86C0140 4500000A
	ds_read_b32 v70, v10 offset:384                            // 000000011F00: D86C0180 4600000A
	ds_read_b32 v71, v10 offset:448                            // 000000011F08: D86C01C0 4700000A
	ds_read_b32 v72, v10 offset:512                            // 000000011F10: D86C0200 4800000A
	ds_read_b32 v73, v10 offset:576                            // 000000011F18: D86C0240 4900000A
	ds_read_b32 v74, v10 offset:640                            // 000000011F20: D86C0280 4A00000A
	ds_read_b32 v75, v10 offset:704                            // 000000011F28: D86C02C0 4B00000A
	ds_read_b32 v76, v10 offset:768                            // 000000011F30: D86C0300 4C00000A
	ds_read_b32 v77, v10 offset:832                            // 000000011F38: D86C0340 4D00000A
	ds_read_b32 v78, v10 offset:896                            // 000000011F40: D86C0380 4E00000A
	ds_read_b32 v79, v10 offset:960                            // 000000011F48: D86C03C0 4F00000A
	s_waitcnt lgkmcnt(0)                                       // 000000011F50: BF8CC07F
	v_max3_f32 v50, v64, v65, v50                              // 000000011F54: D1D30032 04CA8340
	v_max3_f32 v50, v66, v67, v50                              // 000000011F5C: D1D30032 04CA8742
	v_max3_f32 v50, v68, v69, v50                              // 000000011F64: D1D30032 04CA8B44
	v_max3_f32 v50, v70, v71, v50                              // 000000011F6C: D1D30032 04CA8F46
	v_max3_f32 v50, v72, v73, v50                              // 000000011F74: D1D30032 04CA9348
	v_max3_f32 v50, v74, v75, v50                              // 000000011F7C: D1D30032 04CA974A
	v_max3_f32 v50, v76, v77, v50                              // 000000011F84: D1D30032 04CA9B4C
	v_max3_f32 v50, v78, v79, v50                              // 000000011F8C: D1D30032 04CA9F4E
	v_cmp_eq_u32_e64 s[40:41], v55, v15                        // 000000011F94: D0CA0028 00021F37
	s_nop 1                                                    // 000000011F9C: BF800001
	v_max_f32_e32 v16, v50, v15                                // 000000011FA0: 16201F32
	v_sub_f32_e32 v52, v15, v16                                // 000000011FA4: 0468210F
	v_cndmask_b32_e64 v52, v52, 0, s[40:41]                    // 000000011FA8: D1000034 00A10134
	v_mov_b32_e32 v15, v16                                     // 000000011FB0: 7E1E0310
	v_mul_f32_e32 v53, s64, v16                                // 000000011FB4: 0A6A2040
	v_mul_f32_e32 v52, s64, v52                                // 000000011FB8: 0A686840
	v_exp_f32_e32 v52, v52                                     // 000000011FBC: 7E684134
	v_fma_f32 v144, v144, s64, -v53                            // 000000011FC0: D1CB0090 84D48190
	v_fma_f32 v145, v145, s64, -v53                            // 000000011FC8: D1CB0091 84D48191
	v_fma_f32 v146, v146, s64, -v53                            // 000000011FD0: D1CB0092 84D48192
	v_fma_f32 v147, v147, s64, -v53                            // 000000011FD8: D1CB0093 84D48193
	v_fma_f32 v148, v148, s64, -v53                            // 000000011FE0: D1CB0094 84D48194
	v_fma_f32 v149, v149, s64, -v53                            // 000000011FE8: D1CB0095 84D48195
	v_fma_f32 v150, v150, s64, -v53                            // 000000011FF0: D1CB0096 84D48196
	v_fma_f32 v151, v151, s64, -v53                            // 000000011FF8: D1CB0097 84D48197
	v_fma_f32 v152, v152, s64, -v53                            // 000000012000: D1CB0098 84D48198
	v_fma_f32 v153, v153, s64, -v53                            // 000000012008: D1CB0099 84D48199
	v_fma_f32 v154, v154, s64, -v53                            // 000000012010: D1CB009A 84D4819A
	v_fma_f32 v155, v155, s64, -v53                            // 000000012018: D1CB009B 84D4819B
	v_fma_f32 v156, v156, s64, -v53                            // 000000012020: D1CB009C 84D4819C
	v_fma_f32 v157, v157, s64, -v53                            // 000000012028: D1CB009D 84D4819D
	v_fma_f32 v158, v158, s64, -v53                            // 000000012030: D1CB009E 84D4819E
	v_fma_f32 v159, v159, s64, -v53                            // 000000012038: D1CB009F 84D4819F
	v_exp_f32_e32 v144, v144                                   // 000000012040: 7F204190
	v_exp_f32_e32 v145, v145                                   // 000000012044: 7F224191
	v_exp_f32_e32 v146, v146                                   // 000000012048: 7F244192
	v_exp_f32_e32 v147, v147                                   // 00000001204C: 7F264193
	v_exp_f32_e32 v148, v148                                   // 000000012050: 7F284194
	v_exp_f32_e32 v149, v149                                   // 000000012054: 7F2A4195
	v_exp_f32_e32 v150, v150                                   // 000000012058: 7F2C4196
	v_exp_f32_e32 v151, v151                                   // 00000001205C: 7F2E4197
	v_exp_f32_e32 v152, v152                                   // 000000012060: 7F304198
	v_exp_f32_e32 v153, v153                                   // 000000012064: 7F324199
	v_exp_f32_e32 v154, v154                                   // 000000012068: 7F34419A
	v_exp_f32_e32 v155, v155                                   // 00000001206C: 7F36419B
	v_exp_f32_e32 v156, v156                                   // 000000012070: 7F38419C
	v_exp_f32_e32 v157, v157                                   // 000000012074: 7F3A419D
	v_exp_f32_e32 v158, v158                                   // 000000012078: 7F3C419E
	v_exp_f32_e32 v159, v159                                   // 00000001207C: 7F3E419F
	v_mul_f32_e32 v44, v52, v44                                // 000000012080: 0A585934
	v_mov_b32_e32 v45, v144                                    // 000000012084: 7E5A0390
	v_add_f32_e32 v45, v145, v45                               // 000000012088: 025A5B91
	v_add_f32_e32 v45, v146, v45                               // 00000001208C: 025A5B92
	v_add_f32_e32 v45, v147, v45                               // 000000012090: 025A5B93
	v_add_f32_e32 v45, v148, v45                               // 000000012094: 025A5B94
	v_add_f32_e32 v45, v149, v45                               // 000000012098: 025A5B95
	v_add_f32_e32 v45, v150, v45                               // 00000001209C: 025A5B96
	v_add_f32_e32 v45, v151, v45                               // 0000000120A0: 025A5B97
	v_add_f32_e32 v45, v152, v45                               // 0000000120A4: 025A5B98
	v_add_f32_e32 v45, v153, v45                               // 0000000120A8: 025A5B99
	v_add_f32_e32 v45, v154, v45                               // 0000000120AC: 025A5B9A
	v_add_f32_e32 v45, v155, v45                               // 0000000120B0: 025A5B9B
	v_add_f32_e32 v45, v156, v45                               // 0000000120B4: 025A5B9C
	v_add_f32_e32 v45, v157, v45                               // 0000000120B8: 025A5B9D
	v_add_f32_e32 v45, v158, v45                               // 0000000120BC: 025A5B9E
	v_add_f32_e32 v45, v159, v45                               // 0000000120C0: 025A5B9F
	v_add_f32_e32 v44, v45, v44                                // 0000000120C4: 0258592D
	v_cmp_u_f32_e64 s[40:41], v144, v144                       // 0000000120C8: D0480028 00032190
	v_add3_u32 v19, v144, v22, 1                               // 0000000120D0: D1FF0013 02062D90
	v_cndmask_b32_e64 v39, v19, v21, s[40:41]                  // 0000000120D8: D1000027 00A22B13
	v_cmp_u_f32_e64 s[40:41], v145, v145                       // 0000000120E0: D0480028 00032391
	v_add3_u32 v19, v145, v22, 1                               // 0000000120E8: D1FF0013 02062D91
	v_cndmask_b32_e64 v40, v19, v21, s[40:41]                  // 0000000120F0: D1000028 00A22B13
	v_perm_b32 v144, v40, v39, s52                             // 0000000120F8: D1ED0090 00D24F28
	v_cmp_u_f32_e64 s[40:41], v146, v146                       // 000000012100: D0480028 00032592
	v_add3_u32 v19, v146, v22, 1                               // 000000012108: D1FF0013 02062D92
	v_cndmask_b32_e64 v39, v19, v21, s[40:41]                  // 000000012110: D1000027 00A22B13
	v_cmp_u_f32_e64 s[40:41], v147, v147                       // 000000012118: D0480028 00032793
	v_add3_u32 v19, v147, v22, 1                               // 000000012120: D1FF0013 02062D93
	v_cndmask_b32_e64 v40, v19, v21, s[40:41]                  // 000000012128: D1000028 00A22B13
	v_perm_b32 v145, v40, v39, s52                             // 000000012130: D1ED0091 00D24F28
	v_cmp_u_f32_e64 s[40:41], v148, v148                       // 000000012138: D0480028 00032994
	v_add3_u32 v19, v148, v22, 1                               // 000000012140: D1FF0013 02062D94
	v_cndmask_b32_e64 v39, v19, v21, s[40:41]                  // 000000012148: D1000027 00A22B13
	v_cmp_u_f32_e64 s[40:41], v149, v149                       // 000000012150: D0480028 00032B95
	v_add3_u32 v19, v149, v22, 1                               // 000000012158: D1FF0013 02062D95
	v_cndmask_b32_e64 v40, v19, v21, s[40:41]                  // 000000012160: D1000028 00A22B13
	v_perm_b32 v146, v40, v39, s52                             // 000000012168: D1ED0092 00D24F28
	v_cmp_u_f32_e64 s[40:41], v150, v150                       // 000000012170: D0480028 00032D96
	v_add3_u32 v19, v150, v22, 1                               // 000000012178: D1FF0013 02062D96
	v_cndmask_b32_e64 v39, v19, v21, s[40:41]                  // 000000012180: D1000027 00A22B13
	v_cmp_u_f32_e64 s[40:41], v151, v151                       // 000000012188: D0480028 00032F97
	v_add3_u32 v19, v151, v22, 1                               // 000000012190: D1FF0013 02062D97
	v_cndmask_b32_e64 v40, v19, v21, s[40:41]                  // 000000012198: D1000028 00A22B13
	v_perm_b32 v147, v40, v39, s52                             // 0000000121A0: D1ED0093 00D24F28
	v_cmp_u_f32_e64 s[40:41], v152, v152                       // 0000000121A8: D0480028 00033198
	v_add3_u32 v19, v152, v22, 1                               // 0000000121B0: D1FF0013 02062D98
	v_cndmask_b32_e64 v39, v19, v21, s[40:41]                  // 0000000121B8: D1000027 00A22B13
	v_cmp_u_f32_e64 s[40:41], v153, v153                       // 0000000121C0: D0480028 00033399
	v_add3_u32 v19, v153, v22, 1                               // 0000000121C8: D1FF0013 02062D99
	v_cndmask_b32_e64 v40, v19, v21, s[40:41]                  // 0000000121D0: D1000028 00A22B13
	v_perm_b32 v148, v40, v39, s52                             // 0000000121D8: D1ED0094 00D24F28
	v_cmp_u_f32_e64 s[40:41], v154, v154                       // 0000000121E0: D0480028 0003359A
	v_add3_u32 v19, v154, v22, 1                               // 0000000121E8: D1FF0013 02062D9A
	v_cndmask_b32_e64 v39, v19, v21, s[40:41]                  // 0000000121F0: D1000027 00A22B13
	v_cmp_u_f32_e64 s[40:41], v155, v155                       // 0000000121F8: D0480028 0003379B
	v_add3_u32 v19, v155, v22, 1                               // 000000012200: D1FF0013 02062D9B
	v_cndmask_b32_e64 v40, v19, v21, s[40:41]                  // 000000012208: D1000028 00A22B13
	v_perm_b32 v149, v40, v39, s52                             // 000000012210: D1ED0095 00D24F28
	v_cmp_u_f32_e64 s[40:41], v156, v156                       // 000000012218: D0480028 0003399C
	v_add3_u32 v19, v156, v22, 1                               // 000000012220: D1FF0013 02062D9C
	v_cndmask_b32_e64 v39, v19, v21, s[40:41]                  // 000000012228: D1000027 00A22B13
	v_cmp_u_f32_e64 s[40:41], v157, v157                       // 000000012230: D0480028 00033B9D
	v_add3_u32 v19, v157, v22, 1                               // 000000012238: D1FF0013 02062D9D
	v_cndmask_b32_e64 v40, v19, v21, s[40:41]                  // 000000012240: D1000028 00A22B13
	v_perm_b32 v150, v40, v39, s52                             // 000000012248: D1ED0096 00D24F28
	v_cmp_u_f32_e64 s[40:41], v158, v158                       // 000000012250: D0480028 00033D9E
	v_add3_u32 v19, v158, v22, 1                               // 000000012258: D1FF0013 02062D9E
	v_cndmask_b32_e64 v39, v19, v21, s[40:41]                  // 000000012260: D1000027 00A22B13
	v_cmp_u_f32_e64 s[40:41], v159, v159                       // 000000012268: D0480028 00033F9F
	v_add3_u32 v19, v159, v22, 1                               // 000000012270: D1FF0013 02062D9F
	v_cndmask_b32_e64 v40, v19, v21, s[40:41]                  // 000000012278: D1000028 00A22B13
	v_perm_b32 v151, v40, v39, s52                             // 000000012280: D1ED0097 00D24F28
	ds_write_b64 v13, v[144:145] offset:4096                   // 000000012288: D89A1000 0000900D
	ds_write_b64 v13, v[146:147] offset:6144                   // 000000012290: D89A1800 0000920D
	ds_write_b64 v13, v[148:149] offset:8192                   // 000000012298: D89A2000 0000940D
	ds_write_b64 v13, v[150:151] offset:10240                  // 0000000122A0: D89A2800 0000960D
	s_waitcnt lgkmcnt(0)                                       // 0000000122A8: BF8CC07F
	s_barrier                                                  // 0000000122AC: BF8A0000
	ds_read_b64 v[144:145], v12 offset:4096                    // 0000000122B0: D8EC1000 9000000C
	ds_read_b64 v[146:147], v12 offset:4224                    // 0000000122B8: D8EC1080 9200000C
	ds_read_b64 v[148:149], v12 offset:5120                    // 0000000122C0: D8EC1400 9400000C
	ds_read_b64 v[150:151], v12 offset:5248                    // 0000000122C8: D8EC1480 9600000C
	ds_read_b64 v[152:153], v12 offset:6144                    // 0000000122D0: D8EC1800 9800000C
	ds_read_b64 v[154:155], v12 offset:6272                    // 0000000122D8: D8EC1880 9A00000C
	ds_read_b64 v[156:157], v12 offset:7168                    // 0000000122E0: D8EC1C00 9C00000C
	ds_read_b64 v[158:159], v12 offset:7296                    // 0000000122E8: D8EC1C80 9E00000C
	ds_read_b64 v[160:161], v12 offset:8192                    // 0000000122F0: D8EC2000 A000000C
	ds_read_b64 v[162:163], v12 offset:8320                    // 0000000122F8: D8EC2080 A200000C
	ds_read_b64 v[164:165], v12 offset:9216                    // 000000012300: D8EC2400 A400000C
	ds_read_b64 v[166:167], v12 offset:9344                    // 000000012308: D8EC2480 A600000C
	ds_read_b64 v[168:169], v12 offset:10240                   // 000000012310: D8EC2800 A800000C
	ds_read_b64 v[170:171], v12 offset:10368                   // 000000012318: D8EC2880 AA00000C
	ds_read_b64 v[172:173], v12 offset:11264                   // 000000012320: D8EC2C00 AC00000C
	ds_read_b64 v[174:175], v12 offset:11392                   // 000000012328: D8EC2C80 AE00000C
	s_waitcnt lgkmcnt(0)                                       // 000000012330: BF8CC07F
	v_mul_f32_e32 v176, v51, v176                              // 000000012334: 0B616133
	v_mul_f32_e32 v177, v51, v177                              // 000000012338: 0B636333
	v_mul_f32_e32 v178, v51, v178                              // 00000001233C: 0B656533
	v_mul_f32_e32 v179, v51, v179                              // 000000012340: 0B676733
	v_mul_f32_e32 v180, v51, v180                              // 000000012344: 0B696933
	v_mul_f32_e32 v181, v51, v181                              // 000000012348: 0B6B6B33
	v_mul_f32_e32 v182, v51, v182                              // 00000001234C: 0B6D6D33
	v_mul_f32_e32 v183, v51, v183                              // 000000012350: 0B6F6F33
	v_mul_f32_e32 v184, v52, v184                              // 000000012354: 0B717134
	v_mul_f32_e32 v185, v52, v185                              // 000000012358: 0B737334
	v_mul_f32_e32 v186, v52, v186                              // 00000001235C: 0B757534
	v_mul_f32_e32 v187, v52, v187                              // 000000012360: 0B777734
	v_mul_f32_e32 v188, v52, v188                              // 000000012364: 0B797934
	v_mul_f32_e32 v189, v52, v189                              // 000000012368: 0B7B7B34
	v_mul_f32_e32 v190, v52, v190                              // 00000001236C: 0B7D7D34
	v_mul_f32_e32 v191, v52, v191                              // 000000012370: 0B7F7F34
	s_waitcnt vmcnt(0)                                         // 000000012374: BF8C0F70
	s_barrier                                                  // 000000012378: BF8A0000
	v_mfma_f32_16x16x16_bf16 v[176:179], a[192:193], v[112:113], v[176:179]// 00000001237C: D3E100B0 0EC2E1C0
	v_mfma_f32_16x16x16_bf16 v[176:179], a[194:195], v[114:115], v[176:179]// 000000012384: D3E100B0 0EC2E5C2
	v_mfma_f32_16x16x16_bf16 v[176:179], a[196:197], v[116:117], v[176:179]// 00000001238C: D3E100B0 0EC2E9C4
	v_mfma_f32_16x16x16_bf16 v[176:179], a[198:199], v[118:119], v[176:179]// 000000012394: D3E100B0 0EC2EDC6
	v_mfma_f32_16x16x16_bf16 v[176:179], a[200:201], v[120:121], v[176:179]// 00000001239C: D3E100B0 0EC2F1C8
	v_mfma_f32_16x16x16_bf16 v[176:179], a[202:203], v[122:123], v[176:179]// 0000000123A4: D3E100B0 0EC2F5CA
	v_mfma_f32_16x16x16_bf16 v[176:179], a[204:205], v[124:125], v[176:179]// 0000000123AC: D3E100B0 0EC2F9CC
	v_mfma_f32_16x16x16_bf16 v[176:179], a[206:207], v[126:127], v[176:179]// 0000000123B4: D3E100B0 0EC2FDCE
	v_mfma_f32_16x16x16_bf16 v[176:179], a[208:209], v[128:129], v[176:179]// 0000000123BC: D3E100B0 0EC301D0
	v_mfma_f32_16x16x16_bf16 v[176:179], a[210:211], v[130:131], v[176:179]// 0000000123C4: D3E100B0 0EC305D2
	v_mfma_f32_16x16x16_bf16 v[176:179], a[212:213], v[132:133], v[176:179]// 0000000123CC: D3E100B0 0EC309D4
	v_mfma_f32_16x16x16_bf16 v[176:179], a[214:215], v[134:135], v[176:179]// 0000000123D4: D3E100B0 0EC30DD6
	v_mfma_f32_16x16x16_bf16 v[176:179], a[216:217], v[136:137], v[176:179]// 0000000123DC: D3E100B0 0EC311D8
	v_mfma_f32_16x16x16_bf16 v[176:179], a[218:219], v[138:139], v[176:179]// 0000000123E4: D3E100B0 0EC315DA
	v_mfma_f32_16x16x16_bf16 v[176:179], a[220:221], v[140:141], v[176:179]// 0000000123EC: D3E100B0 0EC319DC
	v_mfma_f32_16x16x16_bf16 v[176:179], a[222:223], v[142:143], v[176:179]// 0000000123F4: D3E100B0 0EC31DDE
	v_mfma_f32_16x16x16_bf16 v[180:183], a[224:225], v[112:113], v[180:183]// 0000000123FC: D3E100B4 0ED2E1E0
	v_mfma_f32_16x16x16_bf16 v[180:183], a[226:227], v[114:115], v[180:183]// 000000012404: D3E100B4 0ED2E5E2
	v_mfma_f32_16x16x16_bf16 v[180:183], a[228:229], v[116:117], v[180:183]// 00000001240C: D3E100B4 0ED2E9E4
	v_mfma_f32_16x16x16_bf16 v[180:183], a[230:231], v[118:119], v[180:183]// 000000012414: D3E100B4 0ED2EDE6
	v_mfma_f32_16x16x16_bf16 v[180:183], a[232:233], v[120:121], v[180:183]// 00000001241C: D3E100B4 0ED2F1E8
	v_mfma_f32_16x16x16_bf16 v[180:183], a[234:235], v[122:123], v[180:183]// 000000012424: D3E100B4 0ED2F5EA
	v_mfma_f32_16x16x16_bf16 v[180:183], a[236:237], v[124:125], v[180:183]// 00000001242C: D3E100B4 0ED2F9EC
	v_mfma_f32_16x16x16_bf16 v[180:183], a[238:239], v[126:127], v[180:183]// 000000012434: D3E100B4 0ED2FDEE
	v_mfma_f32_16x16x16_bf16 v[180:183], a[240:241], v[128:129], v[180:183]// 00000001243C: D3E100B4 0ED301F0
	v_mfma_f32_16x16x16_bf16 v[180:183], a[242:243], v[130:131], v[180:183]// 000000012444: D3E100B4 0ED305F2
	v_mfma_f32_16x16x16_bf16 v[180:183], a[244:245], v[132:133], v[180:183]// 00000001244C: D3E100B4 0ED309F4
	v_mfma_f32_16x16x16_bf16 v[180:183], a[246:247], v[134:135], v[180:183]// 000000012454: D3E100B4 0ED30DF6
	v_mfma_f32_16x16x16_bf16 v[180:183], a[248:249], v[136:137], v[180:183]// 00000001245C: D3E100B4 0ED311F8
	v_mfma_f32_16x16x16_bf16 v[180:183], a[250:251], v[138:139], v[180:183]// 000000012464: D3E100B4 0ED315FA
	v_mfma_f32_16x16x16_bf16 v[180:183], a[252:253], v[140:141], v[180:183]// 00000001246C: D3E100B4 0ED319FC
	v_mfma_f32_16x16x16_bf16 v[180:183], a[254:255], v[142:143], v[180:183]// 000000012474: D3E100B4 0ED31DFE
	v_mfma_f32_16x16x16_bf16 v[184:187], a[192:193], v[144:145], v[184:187]// 00000001247C: D3E100B8 0EE321C0
	v_mfma_f32_16x16x16_bf16 v[184:187], a[194:195], v[146:147], v[184:187]// 000000012484: D3E100B8 0EE325C2
	v_mfma_f32_16x16x16_bf16 v[184:187], a[196:197], v[148:149], v[184:187]// 00000001248C: D3E100B8 0EE329C4
	v_mfma_f32_16x16x16_bf16 v[184:187], a[198:199], v[150:151], v[184:187]// 000000012494: D3E100B8 0EE32DC6
	v_mfma_f32_16x16x16_bf16 v[184:187], a[200:201], v[152:153], v[184:187]// 00000001249C: D3E100B8 0EE331C8
	v_mfma_f32_16x16x16_bf16 v[184:187], a[202:203], v[154:155], v[184:187]// 0000000124A4: D3E100B8 0EE335CA
	v_mfma_f32_16x16x16_bf16 v[184:187], a[204:205], v[156:157], v[184:187]// 0000000124AC: D3E100B8 0EE339CC
	v_mfma_f32_16x16x16_bf16 v[184:187], a[206:207], v[158:159], v[184:187]// 0000000124B4: D3E100B8 0EE33DCE
	v_mfma_f32_16x16x16_bf16 v[184:187], a[208:209], v[160:161], v[184:187]// 0000000124BC: D3E100B8 0EE341D0
	v_mfma_f32_16x16x16_bf16 v[184:187], a[210:211], v[162:163], v[184:187]// 0000000124C4: D3E100B8 0EE345D2
	v_mfma_f32_16x16x16_bf16 v[184:187], a[212:213], v[164:165], v[184:187]// 0000000124CC: D3E100B8 0EE349D4
	v_mfma_f32_16x16x16_bf16 v[184:187], a[214:215], v[166:167], v[184:187]// 0000000124D4: D3E100B8 0EE34DD6
	v_mfma_f32_16x16x16_bf16 v[184:187], a[216:217], v[168:169], v[184:187]// 0000000124DC: D3E100B8 0EE351D8
	v_mfma_f32_16x16x16_bf16 v[184:187], a[218:219], v[170:171], v[184:187]// 0000000124E4: D3E100B8 0EE355DA
	v_mfma_f32_16x16x16_bf16 v[184:187], a[220:221], v[172:173], v[184:187]// 0000000124EC: D3E100B8 0EE359DC
	v_mfma_f32_16x16x16_bf16 v[184:187], a[222:223], v[174:175], v[184:187]// 0000000124F4: D3E100B8 0EE35DDE
	v_mfma_f32_16x16x16_bf16 v[188:191], a[224:225], v[144:145], v[188:191]// 0000000124FC: D3E100BC 0EF321E0
	v_mfma_f32_16x16x16_bf16 v[188:191], a[226:227], v[146:147], v[188:191]// 000000012504: D3E100BC 0EF325E2
	v_mfma_f32_16x16x16_bf16 v[188:191], a[228:229], v[148:149], v[188:191]// 00000001250C: D3E100BC 0EF329E4
	v_mfma_f32_16x16x16_bf16 v[188:191], a[230:231], v[150:151], v[188:191]// 000000012514: D3E100BC 0EF32DE6
	v_mfma_f32_16x16x16_bf16 v[188:191], a[232:233], v[152:153], v[188:191]// 00000001251C: D3E100BC 0EF331E8
	v_mfma_f32_16x16x16_bf16 v[188:191], a[234:235], v[154:155], v[188:191]// 000000012524: D3E100BC 0EF335EA
	v_mfma_f32_16x16x16_bf16 v[188:191], a[236:237], v[156:157], v[188:191]// 00000001252C: D3E100BC 0EF339EC
	v_mfma_f32_16x16x16_bf16 v[188:191], a[238:239], v[158:159], v[188:191]// 000000012534: D3E100BC 0EF33DEE
	v_mfma_f32_16x16x16_bf16 v[188:191], a[240:241], v[160:161], v[188:191]// 00000001253C: D3E100BC 0EF341F0
	v_mfma_f32_16x16x16_bf16 v[188:191], a[242:243], v[162:163], v[188:191]// 000000012544: D3E100BC 0EF345F2
	v_mfma_f32_16x16x16_bf16 v[188:191], a[244:245], v[164:165], v[188:191]// 00000001254C: D3E100BC 0EF349F4
	v_mfma_f32_16x16x16_bf16 v[188:191], a[246:247], v[166:167], v[188:191]// 000000012554: D3E100BC 0EF34DF6
	v_mfma_f32_16x16x16_bf16 v[188:191], a[248:249], v[168:169], v[188:191]// 00000001255C: D3E100BC 0EF351F8
	v_mfma_f32_16x16x16_bf16 v[188:191], a[250:251], v[170:171], v[188:191]// 000000012564: D3E100BC 0EF355FA
	v_mfma_f32_16x16x16_bf16 v[188:191], a[252:253], v[172:173], v[188:191]// 00000001256C: D3E100BC 0EF359FC
	v_mfma_f32_16x16x16_bf16 v[188:191], a[254:255], v[174:175], v[188:191]// 000000012574: D3E100BC 0EF35DFE
	s_nop 8                                                    // 00000001257C: BF800008
	s_branch label_40E2                                        // 000000012580: BF820000

0000000000012584 <label_40E2>:
	s_mov_b32 s60, 0xa0                                        // 000000012584: BEBC00FF 000000A0
	s_cmp_eq_i32 s60, s88                                      // 00000001258C: BF00583C
	s_cbranch_scc1 label_422F                                  // 000000012590: BF850149
	ds_write_b32 v11, v43                                      // 000000012594: D81A0000 00002B0B
	s_waitcnt lgkmcnt(0)                                       // 00000001259C: BF8CC07F
	s_barrier                                                  // 0000000125A0: BF8A0000
	ds_read_b32 v64, v10                                       // 0000000125A4: D86C0000 4000000A
	ds_read_b32 v65, v10 offset:64                             // 0000000125AC: D86C0040 4100000A
	ds_read_b32 v66, v10 offset:128                            // 0000000125B4: D86C0080 4200000A
	ds_read_b32 v67, v10 offset:192                            // 0000000125BC: D86C00C0 4300000A
	ds_read_b32 v68, v10 offset:256                            // 0000000125C4: D86C0100 4400000A
	ds_read_b32 v69, v10 offset:320                            // 0000000125CC: D86C0140 4500000A
	ds_read_b32 v70, v10 offset:384                            // 0000000125D4: D86C0180 4600000A
	ds_read_b32 v71, v10 offset:448                            // 0000000125DC: D86C01C0 4700000A
	ds_read_b32 v72, v10 offset:512                            // 0000000125E4: D86C0200 4800000A
	ds_read_b32 v73, v10 offset:576                            // 0000000125EC: D86C0240 4900000A
	ds_read_b32 v74, v10 offset:640                            // 0000000125F4: D86C0280 4A00000A
	ds_read_b32 v75, v10 offset:704                            // 0000000125FC: D86C02C0 4B00000A
	ds_read_b32 v76, v10 offset:768                            // 000000012604: D86C0300 4C00000A
	ds_read_b32 v77, v10 offset:832                            // 00000001260C: D86C0340 4D00000A
	ds_read_b32 v78, v10 offset:896                            // 000000012614: D86C0380 4E00000A
	ds_read_b32 v79, v10 offset:960                            // 00000001261C: D86C03C0 4F00000A
	s_waitcnt lgkmcnt(0)                                       // 000000012624: BF8CC07F
	v_mov_b32_e32 v43, 0                                       // 000000012628: 7E560280
	v_add_f32_e32 v43, v64, v43                                // 00000001262C: 02565740
	v_add_f32_e32 v43, v65, v43                                // 000000012630: 02565741
	v_add_f32_e32 v43, v66, v43                                // 000000012634: 02565742
	;; [unrolled: 1-line block ×3, first 2 shown]
	v_add_f32_e32 v43, v68, v43                                // 00000001263C: 02565744
	v_add_f32_e32 v43, v69, v43                                // 000000012640: 02565745
	v_add_f32_e32 v43, v70, v43                                // 000000012644: 02565746
	;; [unrolled: 1-line block ×3, first 2 shown]
	v_add_f32_e32 v43, v72, v43                                // 00000001264C: 02565748
	v_add_f32_e32 v43, v73, v43                                // 000000012650: 02565749
	v_add_f32_e32 v43, v74, v43                                // 000000012654: 0256574A
	v_add_f32_e32 v43, v75, v43                                // 000000012658: 0256574B
	v_add_f32_e32 v43, v76, v43                                // 00000001265C: 0256574C
	v_add_f32_e32 v43, v77, v43                                // 000000012660: 0256574D
	v_add_f32_e32 v43, v78, v43                                // 000000012664: 0256574E
	v_add_f32_e32 v43, v79, v43                                // 000000012668: 0256574F
	s_nop 1                                                    // 00000001266C: BF800001
	v_rcp_f32_e32 v43, v43                                     // 000000012670: 7E56452B
	s_nop 1                                                    // 000000012674: BF800001
	v_mul_f32_e32 v176, v43, v176                              // 000000012678: 0B61612B
	v_mul_f32_e32 v177, v43, v177                              // 00000001267C: 0B63632B
	v_mul_f32_e32 v178, v43, v178                              // 000000012680: 0B65652B
	v_mul_f32_e32 v179, v43, v179                              // 000000012684: 0B67672B
	v_mul_f32_e32 v180, v43, v180                              // 000000012688: 0B69692B
	v_mul_f32_e32 v181, v43, v181                              // 00000001268C: 0B6B6B2B
	v_mul_f32_e32 v182, v43, v182                              // 000000012690: 0B6D6D2B
	v_mul_f32_e32 v183, v43, v183                              // 000000012694: 0B6F6F2B
	v_cmp_u_f32_e64 s[40:41], v176, v176                       // 000000012698: D0480028 000361B0
	v_add3_u32 v19, v176, v22, 1                               // 0000000126A0: D1FF0013 02062DB0
	v_cndmask_b32_e64 v39, v19, v21, s[40:41]                  // 0000000126A8: D1000027 00A22B13
	v_cmp_u_f32_e64 s[40:41], v177, v177                       // 0000000126B0: D0480028 000363B1
	v_add3_u32 v19, v177, v22, 1                               // 0000000126B8: D1FF0013 02062DB1
	v_cndmask_b32_e64 v40, v19, v21, s[40:41]                  // 0000000126C0: D1000028 00A22B13
	v_perm_b32 v176, v40, v39, s52                             // 0000000126C8: D1ED00B0 00D24F28
	v_cmp_u_f32_e64 s[40:41], v178, v178                       // 0000000126D0: D0480028 000365B2
	v_add3_u32 v19, v178, v22, 1                               // 0000000126D8: D1FF0013 02062DB2
	v_cndmask_b32_e64 v39, v19, v21, s[40:41]                  // 0000000126E0: D1000027 00A22B13
	v_cmp_u_f32_e64 s[40:41], v179, v179                       // 0000000126E8: D0480028 000367B3
	v_add3_u32 v19, v179, v22, 1                               // 0000000126F0: D1FF0013 02062DB3
	v_cndmask_b32_e64 v40, v19, v21, s[40:41]                  // 0000000126F8: D1000028 00A22B13
	v_perm_b32 v177, v40, v39, s52                             // 000000012700: D1ED00B1 00D24F28
	v_cmp_u_f32_e64 s[40:41], v180, v180                       // 000000012708: D0480028 000369B4
	v_add3_u32 v19, v180, v22, 1                               // 000000012710: D1FF0013 02062DB4
	v_cndmask_b32_e64 v39, v19, v21, s[40:41]                  // 000000012718: D1000027 00A22B13
	v_cmp_u_f32_e64 s[40:41], v181, v181                       // 000000012720: D0480028 00036BB5
	v_add3_u32 v19, v181, v22, 1                               // 000000012728: D1FF0013 02062DB5
	v_cndmask_b32_e64 v40, v19, v21, s[40:41]                  // 000000012730: D1000028 00A22B13
	v_perm_b32 v178, v40, v39, s52                             // 000000012738: D1ED00B2 00D24F28
	v_cmp_u_f32_e64 s[40:41], v182, v182                       // 000000012740: D0480028 00036DB6
	v_add3_u32 v19, v182, v22, 1                               // 000000012748: D1FF0013 02062DB6
	v_cndmask_b32_e64 v39, v19, v21, s[40:41]                  // 000000012750: D1000027 00A22B13
	v_cmp_u_f32_e64 s[40:41], v183, v183                       // 000000012758: D0480028 00036FB7
	v_add3_u32 v19, v183, v22, 1                               // 000000012760: D1FF0013 02062DB7
	v_cndmask_b32_e64 v40, v19, v21, s[40:41]                  // 000000012768: D1000028 00A22B13
	v_perm_b32 v179, v40, v39, s52                             // 000000012770: D1ED00B3 00D24F28
	v_lshrrev_b32_e32 v39, 4, v0                               // 000000012778: 204E0084
	v_mul_i32_i24_e32 v5, 34, v39                              // 00000001277C: 0C0A4EA2
	v_and_b32_e32 v39, 15, v0                                  // 000000012780: 264E008F
	v_mul_i32_i24_e32 v40, 2, v39                              // 000000012784: 0C504E82
	v_add_u32_e32 v5, v40, v5                                  // 000000012788: 680A0B28
	s_mul_i32 s60, s7, 0x88                                    // 00000001278C: 923CFF07 00000088
	v_add_u32_e32 v5, s60, v5                                  // 000000012794: 680A0A3C
	v_lshlrev_b32_e32 v5, 2, v5                                // 000000012798: 240A0A82
	ds_write_b64 v5, v[176:177] offset:36864                   // 00000001279C: D89A9000 0000B005
	ds_write_b64 v5, v[178:179] offset:39040                   // 0000000127A4: D89A9880 0000B205
	v_lshrrev_b32_e32 v39, 1, v0                               // 0000000127AC: 204E0081
	v_mul_i32_i24_e32 v5, 34, v39                              // 0000000127B0: 0C0A4EA2
	v_and_b32_e32 v40, 1, v0                                   // 0000000127B4: 26500081
	v_add_u32_e32 v5, v40, v5                                  // 0000000127B8: 680A0B28
	s_mul_i32 s60, s7, 2                                       // 0000000127BC: 923C8207
	v_add_u32_e32 v5, s60, v5                                  // 0000000127C0: 680A0A3C
	v_lshlrev_b32_e32 v5, 2, v5                                // 0000000127C4: 240A0A82
	s_waitcnt lgkmcnt(0)                                       // 0000000127C8: BF8CC07F
	s_barrier                                                  // 0000000127CC: BF8A0000
	ds_read_b32 v176, v5 offset:36864                          // 0000000127D0: D86C9000 B0000005
	ds_read_b32 v177, v5 offset:36896                          // 0000000127D8: D86C9020 B1000005
	ds_read_b32 v178, v5 offset:36928                          // 0000000127E0: D86C9040 B2000005
	ds_read_b32 v179, v5 offset:36960                          // 0000000127E8: D86C9060 B3000005
	s_waitcnt lgkmcnt(0)                                       // 0000000127F0: BF8CC07F
	buffer_store_dword v176, v8, s[8:11], 0 offen              // 0000000127F4: E0701000 8002B008
	buffer_store_dword v177, v8, s[8:11], 0 offen offset:1024  // 0000000127FC: E0701400 8002B108
	s_add_u32 s8, s75, s8                                      // 000000012804: 8008084B
	s_addc_u32 s9, 0, s9                                       // 000000012808: 82090980
	buffer_store_dword v178, v8, s[8:11], 0 offen              // 00000001280C: E0701000 8002B208
	buffer_store_dword v179, v8, s[8:11], 0 offen offset:1024  // 000000012814: E0701400 8002B308
	s_add_u32 s8, s75, s8                                      // 00000001281C: 8008084B
	s_addc_u32 s9, 0, s9                                       // 000000012820: 82090980
	ds_write_b32 v11, v44                                      // 000000012824: D81A0000 00002C0B
	s_waitcnt lgkmcnt(0)                                       // 00000001282C: BF8CC07F
	s_barrier                                                  // 000000012830: BF8A0000
	ds_read_b32 v64, v10                                       // 000000012834: D86C0000 4000000A
	ds_read_b32 v65, v10 offset:64                             // 00000001283C: D86C0040 4100000A
	ds_read_b32 v66, v10 offset:128                            // 000000012844: D86C0080 4200000A
	ds_read_b32 v67, v10 offset:192                            // 00000001284C: D86C00C0 4300000A
	ds_read_b32 v68, v10 offset:256                            // 000000012854: D86C0100 4400000A
	ds_read_b32 v69, v10 offset:320                            // 00000001285C: D86C0140 4500000A
	ds_read_b32 v70, v10 offset:384                            // 000000012864: D86C0180 4600000A
	ds_read_b32 v71, v10 offset:448                            // 00000001286C: D86C01C0 4700000A
	ds_read_b32 v72, v10 offset:512                            // 000000012874: D86C0200 4800000A
	ds_read_b32 v73, v10 offset:576                            // 00000001287C: D86C0240 4900000A
	ds_read_b32 v74, v10 offset:640                            // 000000012884: D86C0280 4A00000A
	ds_read_b32 v75, v10 offset:704                            // 00000001288C: D86C02C0 4B00000A
	ds_read_b32 v76, v10 offset:768                            // 000000012894: D86C0300 4C00000A
	ds_read_b32 v77, v10 offset:832                            // 00000001289C: D86C0340 4D00000A
	ds_read_b32 v78, v10 offset:896                            // 0000000128A4: D86C0380 4E00000A
	ds_read_b32 v79, v10 offset:960                            // 0000000128AC: D86C03C0 4F00000A
	s_waitcnt lgkmcnt(0)                                       // 0000000128B4: BF8CC07F
	v_mov_b32_e32 v44, 0                                       // 0000000128B8: 7E580280
	v_add_f32_e32 v44, v64, v44                                // 0000000128BC: 02585940
	v_add_f32_e32 v44, v65, v44                                // 0000000128C0: 02585941
	v_add_f32_e32 v44, v66, v44                                // 0000000128C4: 02585942
	v_add_f32_e32 v44, v67, v44                                // 0000000128C8: 02585943
	v_add_f32_e32 v44, v68, v44                                // 0000000128CC: 02585944
	v_add_f32_e32 v44, v69, v44                                // 0000000128D0: 02585945
	v_add_f32_e32 v44, v70, v44                                // 0000000128D4: 02585946
	v_add_f32_e32 v44, v71, v44                                // 0000000128D8: 02585947
	v_add_f32_e32 v44, v72, v44                                // 0000000128DC: 02585948
	v_add_f32_e32 v44, v73, v44                                // 0000000128E0: 02585949
	v_add_f32_e32 v44, v74, v44                                // 0000000128E4: 0258594A
	v_add_f32_e32 v44, v75, v44                                // 0000000128E8: 0258594B
	v_add_f32_e32 v44, v76, v44                                // 0000000128EC: 0258594C
	v_add_f32_e32 v44, v77, v44                                // 0000000128F0: 0258594D
	v_add_f32_e32 v44, v78, v44                                // 0000000128F4: 0258594E
	v_add_f32_e32 v44, v79, v44                                // 0000000128F8: 0258594F
	s_nop 1                                                    // 0000000128FC: BF800001
	v_rcp_f32_e32 v44, v44                                     // 000000012900: 7E58452C
	s_nop 1                                                    // 000000012904: BF800001
	v_mul_f32_e32 v184, v44, v184                              // 000000012908: 0B71712C
	v_mul_f32_e32 v185, v44, v185                              // 00000001290C: 0B73732C
	v_mul_f32_e32 v186, v44, v186                              // 000000012910: 0B75752C
	v_mul_f32_e32 v187, v44, v187                              // 000000012914: 0B77772C
	v_mul_f32_e32 v188, v44, v188                              // 000000012918: 0B79792C
	v_mul_f32_e32 v189, v44, v189                              // 00000001291C: 0B7B7B2C
	v_mul_f32_e32 v190, v44, v190                              // 000000012920: 0B7D7D2C
	v_mul_f32_e32 v191, v44, v191                              // 000000012924: 0B7F7F2C
	v_cmp_u_f32_e64 s[40:41], v184, v184                       // 000000012928: D0480028 000371B8
	v_add3_u32 v19, v184, v22, 1                               // 000000012930: D1FF0013 02062DB8
	v_cndmask_b32_e64 v39, v19, v21, s[40:41]                  // 000000012938: D1000027 00A22B13
	v_cmp_u_f32_e64 s[40:41], v185, v185                       // 000000012940: D0480028 000373B9
	v_add3_u32 v19, v185, v22, 1                               // 000000012948: D1FF0013 02062DB9
	v_cndmask_b32_e64 v40, v19, v21, s[40:41]                  // 000000012950: D1000028 00A22B13
	v_perm_b32 v184, v40, v39, s52                             // 000000012958: D1ED00B8 00D24F28
	v_cmp_u_f32_e64 s[40:41], v186, v186                       // 000000012960: D0480028 000375BA
	v_add3_u32 v19, v186, v22, 1                               // 000000012968: D1FF0013 02062DBA
	v_cndmask_b32_e64 v39, v19, v21, s[40:41]                  // 000000012970: D1000027 00A22B13
	v_cmp_u_f32_e64 s[40:41], v187, v187                       // 000000012978: D0480028 000377BB
	v_add3_u32 v19, v187, v22, 1                               // 000000012980: D1FF0013 02062DBB
	v_cndmask_b32_e64 v40, v19, v21, s[40:41]                  // 000000012988: D1000028 00A22B13
	v_perm_b32 v185, v40, v39, s52                             // 000000012990: D1ED00B9 00D24F28
	v_cmp_u_f32_e64 s[40:41], v188, v188                       // 000000012998: D0480028 000379BC
	v_add3_u32 v19, v188, v22, 1                               // 0000000129A0: D1FF0013 02062DBC
	v_cndmask_b32_e64 v39, v19, v21, s[40:41]                  // 0000000129A8: D1000027 00A22B13
	v_cmp_u_f32_e64 s[40:41], v189, v189                       // 0000000129B0: D0480028 00037BBD
	v_add3_u32 v19, v189, v22, 1                               // 0000000129B8: D1FF0013 02062DBD
	v_cndmask_b32_e64 v40, v19, v21, s[40:41]                  // 0000000129C0: D1000028 00A22B13
	v_perm_b32 v186, v40, v39, s52                             // 0000000129C8: D1ED00BA 00D24F28
	v_cmp_u_f32_e64 s[40:41], v190, v190                       // 0000000129D0: D0480028 00037DBE
	v_add3_u32 v19, v190, v22, 1                               // 0000000129D8: D1FF0013 02062DBE
	v_cndmask_b32_e64 v39, v19, v21, s[40:41]                  // 0000000129E0: D1000027 00A22B13
	v_cmp_u_f32_e64 s[40:41], v191, v191                       // 0000000129E8: D0480028 00037FBF
	v_add3_u32 v19, v191, v22, 1                               // 0000000129F0: D1FF0013 02062DBF
	v_cndmask_b32_e64 v40, v19, v21, s[40:41]                  // 0000000129F8: D1000028 00A22B13
	v_perm_b32 v187, v40, v39, s52                             // 000000012A00: D1ED00BB 00D24F28
	v_lshrrev_b32_e32 v39, 4, v0                               // 000000012A08: 204E0084
	v_mul_i32_i24_e32 v5, 34, v39                              // 000000012A0C: 0C0A4EA2
	v_and_b32_e32 v39, 15, v0                                  // 000000012A10: 264E008F
	v_mul_i32_i24_e32 v40, 2, v39                              // 000000012A14: 0C504E82
	v_add_u32_e32 v5, v40, v5                                  // 000000012A18: 680A0B28
	s_mul_i32 s60, s7, 0x88                                    // 000000012A1C: 923CFF07 00000088
	v_add_u32_e32 v5, s60, v5                                  // 000000012A24: 680A0A3C
	v_lshlrev_b32_e32 v5, 2, v5                                // 000000012A28: 240A0A82
	ds_write_b64 v5, v[184:185] offset:36864                   // 000000012A2C: D89A9000 0000B805
	ds_write_b64 v5, v[186:187] offset:39040                   // 000000012A34: D89A9880 0000BA05
	v_lshrrev_b32_e32 v39, 1, v0                               // 000000012A3C: 204E0081
	v_mul_i32_i24_e32 v5, 34, v39                              // 000000012A40: 0C0A4EA2
	v_and_b32_e32 v40, 1, v0                                   // 000000012A44: 26500081
	v_add_u32_e32 v5, v40, v5                                  // 000000012A48: 680A0B28
	s_mul_i32 s60, s7, 2                                       // 000000012A4C: 923C8207
	v_add_u32_e32 v5, s60, v5                                  // 000000012A50: 680A0A3C
	v_lshlrev_b32_e32 v5, 2, v5                                // 000000012A54: 240A0A82
	s_waitcnt lgkmcnt(0)                                       // 000000012A58: BF8CC07F
	s_barrier                                                  // 000000012A5C: BF8A0000
	ds_read_b32 v184, v5 offset:36864                          // 000000012A60: D86C9000 B8000005
	ds_read_b32 v185, v5 offset:36896                          // 000000012A68: D86C9020 B9000005
	ds_read_b32 v186, v5 offset:36928                          // 000000012A70: D86C9040 BA000005
	ds_read_b32 v187, v5 offset:36960                          // 000000012A78: D86C9060 BB000005
	s_waitcnt lgkmcnt(0)                                       // 000000012A80: BF8CC07F
	buffer_store_dword v184, v8, s[8:11], 0 offen              // 000000012A84: E0701000 8002B808
	buffer_store_dword v185, v8, s[8:11], 0 offen offset:1024  // 000000012A8C: E0701400 8002B908
	s_add_u32 s8, s75, s8                                      // 000000012A94: 8008084B
	s_addc_u32 s9, 0, s9                                       // 000000012A98: 82090980
	buffer_store_dword v186, v8, s[8:11], 0 offen              // 000000012A9C: E0701000 8002BA08
	buffer_store_dword v187, v8, s[8:11], 0 offen offset:1024  // 000000012AA4: E0701400 8002BB08
	s_add_u32 s8, s75, s8                                      // 000000012AAC: 8008084B
	s_addc_u32 s9, 0, s9                                       // 000000012AB0: 82090980
	s_branch label_4371                                        // 000000012AB4: BF820142

0000000000012ab8 <label_422F>:
	ds_write_b32 v11, v43                                      // 000000012AB8: D81A0000 00002B0B
	s_waitcnt lgkmcnt(0)                                       // 000000012AC0: BF8CC07F
	s_barrier                                                  // 000000012AC4: BF8A0000
	ds_read_b32 v64, v10                                       // 000000012AC8: D86C0000 4000000A
	ds_read_b32 v65, v10 offset:64                             // 000000012AD0: D86C0040 4100000A
	ds_read_b32 v66, v10 offset:128                            // 000000012AD8: D86C0080 4200000A
	ds_read_b32 v67, v10 offset:192                            // 000000012AE0: D86C00C0 4300000A
	ds_read_b32 v68, v10 offset:256                            // 000000012AE8: D86C0100 4400000A
	ds_read_b32 v69, v10 offset:320                            // 000000012AF0: D86C0140 4500000A
	ds_read_b32 v70, v10 offset:384                            // 000000012AF8: D86C0180 4600000A
	ds_read_b32 v71, v10 offset:448                            // 000000012B00: D86C01C0 4700000A
	ds_read_b32 v72, v10 offset:512                            // 000000012B08: D86C0200 4800000A
	ds_read_b32 v73, v10 offset:576                            // 000000012B10: D86C0240 4900000A
	ds_read_b32 v74, v10 offset:640                            // 000000012B18: D86C0280 4A00000A
	ds_read_b32 v75, v10 offset:704                            // 000000012B20: D86C02C0 4B00000A
	ds_read_b32 v76, v10 offset:768                            // 000000012B28: D86C0300 4C00000A
	ds_read_b32 v77, v10 offset:832                            // 000000012B30: D86C0340 4D00000A
	ds_read_b32 v78, v10 offset:896                            // 000000012B38: D86C0380 4E00000A
	ds_read_b32 v79, v10 offset:960                            // 000000012B40: D86C03C0 4F00000A
	s_waitcnt lgkmcnt(0)                                       // 000000012B48: BF8CC07F
	v_mov_b32_e32 v43, 0                                       // 000000012B4C: 7E560280
	v_add_f32_e32 v43, v64, v43                                // 000000012B50: 02565740
	v_add_f32_e32 v43, v65, v43                                // 000000012B54: 02565741
	v_add_f32_e32 v43, v66, v43                                // 000000012B58: 02565742
	v_add_f32_e32 v43, v67, v43                                // 000000012B5C: 02565743
	v_add_f32_e32 v43, v68, v43                                // 000000012B60: 02565744
	v_add_f32_e32 v43, v69, v43                                // 000000012B64: 02565745
	v_add_f32_e32 v43, v70, v43                                // 000000012B68: 02565746
	v_add_f32_e32 v43, v71, v43                                // 000000012B6C: 02565747
	v_add_f32_e32 v43, v72, v43                                // 000000012B70: 02565748
	v_add_f32_e32 v43, v73, v43                                // 000000012B74: 02565749
	v_add_f32_e32 v43, v74, v43                                // 000000012B78: 0256574A
	v_add_f32_e32 v43, v75, v43                                // 000000012B7C: 0256574B
	v_add_f32_e32 v43, v76, v43                                // 000000012B80: 0256574C
	v_add_f32_e32 v43, v77, v43                                // 000000012B84: 0256574D
	v_add_f32_e32 v43, v78, v43                                // 000000012B88: 0256574E
	v_add_f32_e32 v43, v79, v43                                // 000000012B8C: 0256574F
	s_nop 1                                                    // 000000012B90: BF800001
	v_rcp_f32_e32 v43, v43                                     // 000000012B94: 7E56452B
	s_nop 1                                                    // 000000012B98: BF800001
	v_mul_f32_e32 v176, v43, v176                              // 000000012B9C: 0B61612B
	v_mul_f32_e32 v177, v43, v177                              // 000000012BA0: 0B63632B
	v_mul_f32_e32 v178, v43, v178                              // 000000012BA4: 0B65652B
	v_mul_f32_e32 v179, v43, v179                              // 000000012BA8: 0B67672B
	v_mul_f32_e32 v180, v43, v180                              // 000000012BAC: 0B69692B
	v_mul_f32_e32 v181, v43, v181                              // 000000012BB0: 0B6B6B2B
	v_mul_f32_e32 v182, v43, v182                              // 000000012BB4: 0B6D6D2B
	v_mul_f32_e32 v183, v43, v183                              // 000000012BB8: 0B6F6F2B
	v_cmp_u_f32_e64 s[40:41], v176, v176                       // 000000012BBC: D0480028 000361B0
	v_add3_u32 v19, v176, v22, 1                               // 000000012BC4: D1FF0013 02062DB0
	v_cndmask_b32_e64 v39, v19, v21, s[40:41]                  // 000000012BCC: D1000027 00A22B13
	v_cmp_u_f32_e64 s[40:41], v177, v177                       // 000000012BD4: D0480028 000363B1
	v_add3_u32 v19, v177, v22, 1                               // 000000012BDC: D1FF0013 02062DB1
	v_cndmask_b32_e64 v40, v19, v21, s[40:41]                  // 000000012BE4: D1000028 00A22B13
	v_perm_b32 v176, v40, v39, s52                             // 000000012BEC: D1ED00B0 00D24F28
	v_cmp_u_f32_e64 s[40:41], v178, v178                       // 000000012BF4: D0480028 000365B2
	v_add3_u32 v19, v178, v22, 1                               // 000000012BFC: D1FF0013 02062DB2
	v_cndmask_b32_e64 v39, v19, v21, s[40:41]                  // 000000012C04: D1000027 00A22B13
	v_cmp_u_f32_e64 s[40:41], v179, v179                       // 000000012C0C: D0480028 000367B3
	v_add3_u32 v19, v179, v22, 1                               // 000000012C14: D1FF0013 02062DB3
	v_cndmask_b32_e64 v40, v19, v21, s[40:41]                  // 000000012C1C: D1000028 00A22B13
	v_perm_b32 v177, v40, v39, s52                             // 000000012C24: D1ED00B1 00D24F28
	v_cmp_u_f32_e64 s[40:41], v180, v180                       // 000000012C2C: D0480028 000369B4
	v_add3_u32 v19, v180, v22, 1                               // 000000012C34: D1FF0013 02062DB4
	v_cndmask_b32_e64 v39, v19, v21, s[40:41]                  // 000000012C3C: D1000027 00A22B13
	v_cmp_u_f32_e64 s[40:41], v181, v181                       // 000000012C44: D0480028 00036BB5
	v_add3_u32 v19, v181, v22, 1                               // 000000012C4C: D1FF0013 02062DB5
	v_cndmask_b32_e64 v40, v19, v21, s[40:41]                  // 000000012C54: D1000028 00A22B13
	v_perm_b32 v178, v40, v39, s52                             // 000000012C5C: D1ED00B2 00D24F28
	v_cmp_u_f32_e64 s[40:41], v182, v182                       // 000000012C64: D0480028 00036DB6
	v_add3_u32 v19, v182, v22, 1                               // 000000012C6C: D1FF0013 02062DB6
	v_cndmask_b32_e64 v39, v19, v21, s[40:41]                  // 000000012C74: D1000027 00A22B13
	v_cmp_u_f32_e64 s[40:41], v183, v183                       // 000000012C7C: D0480028 00036FB7
	v_add3_u32 v19, v183, v22, 1                               // 000000012C84: D1FF0013 02062DB7
	v_cndmask_b32_e64 v40, v19, v21, s[40:41]                  // 000000012C8C: D1000028 00A22B13
	v_perm_b32 v179, v40, v39, s52                             // 000000012C94: D1ED00B3 00D24F28
	v_lshrrev_b32_e32 v39, 4, v0                               // 000000012C9C: 204E0084
	v_mul_i32_i24_e32 v5, 34, v39                              // 000000012CA0: 0C0A4EA2
	v_and_b32_e32 v39, 15, v0                                  // 000000012CA4: 264E008F
	v_mul_i32_i24_e32 v40, 2, v39                              // 000000012CA8: 0C504E82
	v_add_u32_e32 v5, v40, v5                                  // 000000012CAC: 680A0B28
	s_mul_i32 s60, s7, 0x88                                    // 000000012CB0: 923CFF07 00000088
	v_add_u32_e32 v5, s60, v5                                  // 000000012CB8: 680A0A3C
	v_lshlrev_b32_e32 v5, 2, v5                                // 000000012CBC: 240A0A82
	ds_write_b64 v5, v[176:177] offset:36864                   // 000000012CC0: D89A9000 0000B005
	ds_write_b64 v5, v[178:179] offset:39040                   // 000000012CC8: D89A9880 0000B205
	v_lshrrev_b32_e32 v39, 1, v0                               // 000000012CD0: 204E0081
	v_mul_i32_i24_e32 v5, 34, v39                              // 000000012CD4: 0C0A4EA2
	v_and_b32_e32 v40, 1, v0                                   // 000000012CD8: 26500081
	v_add_u32_e32 v5, v40, v5                                  // 000000012CDC: 680A0B28
	s_mul_i32 s60, s7, 2                                       // 000000012CE0: 923C8207
	v_add_u32_e32 v5, s60, v5                                  // 000000012CE4: 680A0A3C
	v_lshlrev_b32_e32 v5, 2, v5                                // 000000012CE8: 240A0A82
	s_waitcnt lgkmcnt(0)                                       // 000000012CEC: BF8CC07F
	s_barrier                                                  // 000000012CF0: BF8A0000
	ds_read_b32 v176, v5 offset:36864                          // 000000012CF4: D86C9000 B0000005
	ds_read_b32 v177, v5 offset:36896                          // 000000012CFC: D86C9020 B1000005
	ds_read_b32 v178, v5 offset:36928                          // 000000012D04: D86C9040 B2000005
	ds_read_b32 v179, v5 offset:36960                          // 000000012D0C: D86C9060 B3000005
	s_waitcnt lgkmcnt(0)                                       // 000000012D14: BF8CC07F
	buffer_store_dword v176, v8, s[8:11], 0 offen              // 000000012D18: E0701000 8002B008
	buffer_store_dword v177, v8, s[8:11], 0 offen offset:1024  // 000000012D20: E0701400 8002B108
	s_add_u32 s8, s75, s8                                      // 000000012D28: 8008084B
	s_addc_u32 s9, 0, s9                                       // 000000012D2C: 82090980
	buffer_store_dword v178, v8, s[8:11], 0 offen              // 000000012D30: E0701000 8002B208
	buffer_store_dword v179, v8, s[8:11], 0 offen offset:1024  // 000000012D38: E0701400 8002B308
	s_add_u32 s8, s75, s8                                      // 000000012D40: 8008084B
	s_addc_u32 s9, 0, s9                                       // 000000012D44: 82090980
	ds_write_b32 v11, v44                                      // 000000012D48: D81A0000 00002C0B
	s_waitcnt lgkmcnt(0)                                       // 000000012D50: BF8CC07F
	s_barrier                                                  // 000000012D54: BF8A0000
	ds_read_b32 v64, v10                                       // 000000012D58: D86C0000 4000000A
	ds_read_b32 v65, v10 offset:64                             // 000000012D60: D86C0040 4100000A
	ds_read_b32 v66, v10 offset:128                            // 000000012D68: D86C0080 4200000A
	ds_read_b32 v67, v10 offset:192                            // 000000012D70: D86C00C0 4300000A
	ds_read_b32 v68, v10 offset:256                            // 000000012D78: D86C0100 4400000A
	ds_read_b32 v69, v10 offset:320                            // 000000012D80: D86C0140 4500000A
	ds_read_b32 v70, v10 offset:384                            // 000000012D88: D86C0180 4600000A
	ds_read_b32 v71, v10 offset:448                            // 000000012D90: D86C01C0 4700000A
	ds_read_b32 v72, v10 offset:512                            // 000000012D98: D86C0200 4800000A
	ds_read_b32 v73, v10 offset:576                            // 000000012DA0: D86C0240 4900000A
	ds_read_b32 v74, v10 offset:640                            // 000000012DA8: D86C0280 4A00000A
	ds_read_b32 v75, v10 offset:704                            // 000000012DB0: D86C02C0 4B00000A
	ds_read_b32 v76, v10 offset:768                            // 000000012DB8: D86C0300 4C00000A
	ds_read_b32 v77, v10 offset:832                            // 000000012DC0: D86C0340 4D00000A
	ds_read_b32 v78, v10 offset:896                            // 000000012DC8: D86C0380 4E00000A
	ds_read_b32 v79, v10 offset:960                            // 000000012DD0: D86C03C0 4F00000A
	s_waitcnt lgkmcnt(0)                                       // 000000012DD8: BF8CC07F
	v_mov_b32_e32 v44, 0                                       // 000000012DDC: 7E580280
	v_add_f32_e32 v44, v64, v44                                // 000000012DE0: 02585940
	v_add_f32_e32 v44, v65, v44                                // 000000012DE4: 02585941
	v_add_f32_e32 v44, v66, v44                                // 000000012DE8: 02585942
	v_add_f32_e32 v44, v67, v44                                // 000000012DEC: 02585943
	v_add_f32_e32 v44, v68, v44                                // 000000012DF0: 02585944
	v_add_f32_e32 v44, v69, v44                                // 000000012DF4: 02585945
	v_add_f32_e32 v44, v70, v44                                // 000000012DF8: 02585946
	v_add_f32_e32 v44, v71, v44                                // 000000012DFC: 02585947
	v_add_f32_e32 v44, v72, v44                                // 000000012E00: 02585948
	v_add_f32_e32 v44, v73, v44                                // 000000012E04: 02585949
	v_add_f32_e32 v44, v74, v44                                // 000000012E08: 0258594A
	v_add_f32_e32 v44, v75, v44                                // 000000012E0C: 0258594B
	v_add_f32_e32 v44, v76, v44                                // 000000012E10: 0258594C
	v_add_f32_e32 v44, v77, v44                                // 000000012E14: 0258594D
	v_add_f32_e32 v44, v78, v44                                // 000000012E18: 0258594E
	v_add_f32_e32 v44, v79, v44                                // 000000012E1C: 0258594F
	s_nop 1                                                    // 000000012E20: BF800001
	v_rcp_f32_e32 v44, v44                                     // 000000012E24: 7E58452C
	s_nop 1                                                    // 000000012E28: BF800001
	v_mul_f32_e32 v184, v44, v184                              // 000000012E2C: 0B71712C
	v_mul_f32_e32 v185, v44, v185                              // 000000012E30: 0B73732C
	v_mul_f32_e32 v186, v44, v186                              // 000000012E34: 0B75752C
	v_mul_f32_e32 v187, v44, v187                              // 000000012E38: 0B77772C
	v_mul_f32_e32 v188, v44, v188                              // 000000012E3C: 0B79792C
	v_mul_f32_e32 v189, v44, v189                              // 000000012E40: 0B7B7B2C
	v_mul_f32_e32 v190, v44, v190                              // 000000012E44: 0B7D7D2C
	v_mul_f32_e32 v191, v44, v191                              // 000000012E48: 0B7F7F2C
	v_cmp_u_f32_e64 s[40:41], v184, v184                       // 000000012E4C: D0480028 000371B8
	v_add3_u32 v19, v184, v22, 1                               // 000000012E54: D1FF0013 02062DB8
	v_cndmask_b32_e64 v39, v19, v21, s[40:41]                  // 000000012E5C: D1000027 00A22B13
	v_cmp_u_f32_e64 s[40:41], v185, v185                       // 000000012E64: D0480028 000373B9
	v_add3_u32 v19, v185, v22, 1                               // 000000012E6C: D1FF0013 02062DB9
	v_cndmask_b32_e64 v40, v19, v21, s[40:41]                  // 000000012E74: D1000028 00A22B13
	v_perm_b32 v184, v40, v39, s52                             // 000000012E7C: D1ED00B8 00D24F28
	v_cmp_u_f32_e64 s[40:41], v186, v186                       // 000000012E84: D0480028 000375BA
	v_add3_u32 v19, v186, v22, 1                               // 000000012E8C: D1FF0013 02062DBA
	v_cndmask_b32_e64 v39, v19, v21, s[40:41]                  // 000000012E94: D1000027 00A22B13
	v_cmp_u_f32_e64 s[40:41], v187, v187                       // 000000012E9C: D0480028 000377BB
	v_add3_u32 v19, v187, v22, 1                               // 000000012EA4: D1FF0013 02062DBB
	v_cndmask_b32_e64 v40, v19, v21, s[40:41]                  // 000000012EAC: D1000028 00A22B13
	v_perm_b32 v185, v40, v39, s52                             // 000000012EB4: D1ED00B9 00D24F28
	v_cmp_u_f32_e64 s[40:41], v188, v188                       // 000000012EBC: D0480028 000379BC
	v_add3_u32 v19, v188, v22, 1                               // 000000012EC4: D1FF0013 02062DBC
	v_cndmask_b32_e64 v39, v19, v21, s[40:41]                  // 000000012ECC: D1000027 00A22B13
	v_cmp_u_f32_e64 s[40:41], v189, v189                       // 000000012ED4: D0480028 00037BBD
	v_add3_u32 v19, v189, v22, 1                               // 000000012EDC: D1FF0013 02062DBD
	v_cndmask_b32_e64 v40, v19, v21, s[40:41]                  // 000000012EE4: D1000028 00A22B13
	v_perm_b32 v186, v40, v39, s52                             // 000000012EEC: D1ED00BA 00D24F28
	v_cmp_u_f32_e64 s[40:41], v190, v190                       // 000000012EF4: D0480028 00037DBE
	v_add3_u32 v19, v190, v22, 1                               // 000000012EFC: D1FF0013 02062DBE
	v_cndmask_b32_e64 v39, v19, v21, s[40:41]                  // 000000012F04: D1000027 00A22B13
	v_cmp_u_f32_e64 s[40:41], v191, v191                       // 000000012F0C: D0480028 00037FBF
	v_add3_u32 v19, v191, v22, 1                               // 000000012F14: D1FF0013 02062DBF
	v_cndmask_b32_e64 v40, v19, v21, s[40:41]                  // 000000012F1C: D1000028 00A22B13
	v_perm_b32 v187, v40, v39, s52                             // 000000012F24: D1ED00BB 00D24F28
	v_lshrrev_b32_e32 v39, 4, v0                               // 000000012F2C: 204E0084
	v_mul_i32_i24_e32 v5, 34, v39                              // 000000012F30: 0C0A4EA2
	v_and_b32_e32 v39, 15, v0                                  // 000000012F34: 264E008F
	v_mul_i32_i24_e32 v40, 2, v39                              // 000000012F38: 0C504E82
	v_add_u32_e32 v5, v40, v5                                  // 000000012F3C: 680A0B28
	s_mul_i32 s60, s7, 0x88                                    // 000000012F40: 923CFF07 00000088
	v_add_u32_e32 v5, s60, v5                                  // 000000012F48: 680A0A3C
	v_lshlrev_b32_e32 v5, 2, v5                                // 000000012F4C: 240A0A82
	ds_write_b64 v5, v[184:185] offset:36864                   // 000000012F50: D89A9000 0000B805
	ds_write_b64 v5, v[186:187] offset:39040                   // 000000012F58: D89A9880 0000BA05
	v_lshrrev_b32_e32 v39, 1, v0                               // 000000012F60: 204E0081
	v_mul_i32_i24_e32 v5, 34, v39                              // 000000012F64: 0C0A4EA2
	v_and_b32_e32 v40, 1, v0                                   // 000000012F68: 26500081
	v_add_u32_e32 v5, v40, v5                                  // 000000012F6C: 680A0B28
	s_mul_i32 s60, s7, 2                                       // 000000012F70: 923C8207
	v_add_u32_e32 v5, s60, v5                                  // 000000012F74: 680A0A3C
	v_lshlrev_b32_e32 v5, 2, v5                                // 000000012F78: 240A0A82
	s_waitcnt lgkmcnt(0)                                       // 000000012F7C: BF8CC07F
	s_barrier                                                  // 000000012F80: BF8A0000
	ds_read_b32 v184, v5 offset:36864                          // 000000012F84: D86C9000 B8000005
	ds_read_b32 v185, v5 offset:36896                          // 000000012F8C: D86C9020 B9000005
	ds_read_b32 v186, v5 offset:36928                          // 000000012F94: D86C9040 BA000005
	ds_read_b32 v187, v5 offset:36960                          // 000000012F9C: D86C9060 BB000005
	s_waitcnt lgkmcnt(0)                                       // 000000012FA4: BF8CC07F
	buffer_store_dword v184, v8, s[8:11], 0 offen              // 000000012FA8: E0701000 8002B808
	buffer_store_dword v185, v8, s[8:11], 0 offen offset:1024  // 000000012FB0: E0701400 8002B908
	s_add_u32 s8, s75, s8                                      // 000000012FB8: 8008084B
	s_addc_u32 s9, 0, s9                                       // 000000012FBC: 82090980

0000000000012fc0 <label_4371>:
	s_waitcnt vmcnt(0) expcnt(0) lgkmcnt(0)                    // 000000012FC0: BF8C0000
	s_endpgm                                                   // 000000012FC4: BF810000
